;; amdgpu-corpus repo=ROCm/rocFFT kind=compiled arch=gfx1201 opt=O3
	.text
	.amdgcn_target "amdgcn-amd-amdhsa--gfx1201"
	.amdhsa_code_object_version 6
	.protected	fft_rtc_back_len160_factors_2_8_10_wgs_200_tpt_10_dim3_sp_ip_CI_sbcc_twdbase8_2step_dirReg_intrinsicReadWrite ; -- Begin function fft_rtc_back_len160_factors_2_8_10_wgs_200_tpt_10_dim3_sp_ip_CI_sbcc_twdbase8_2step_dirReg_intrinsicReadWrite
	.globl	fft_rtc_back_len160_factors_2_8_10_wgs_200_tpt_10_dim3_sp_ip_CI_sbcc_twdbase8_2step_dirReg_intrinsicReadWrite
	.p2align	8
	.type	fft_rtc_back_len160_factors_2_8_10_wgs_200_tpt_10_dim3_sp_ip_CI_sbcc_twdbase8_2step_dirReg_intrinsicReadWrite,@function
fft_rtc_back_len160_factors_2_8_10_wgs_200_tpt_10_dim3_sp_ip_CI_sbcc_twdbase8_2step_dirReg_intrinsicReadWrite: ; @fft_rtc_back_len160_factors_2_8_10_wgs_200_tpt_10_dim3_sp_ip_CI_sbcc_twdbase8_2step_dirReg_intrinsicReadWrite
; %bb.0:
	s_load_b128 s[4:7], s[0:1], 0x10
	s_mov_b32 s11, 0
	s_mov_b32 s2, 0xcccc3000
	;; [unrolled: 1-line block ×4, first 2 shown]
	s_delay_alu instid0(SALU_CYCLE_1) | instskip(SKIP_3) | instid1(SALU_CYCLE_1)
	s_add_nc_u64 s[8:9], s[10:11], s[2:3]
	s_movk_i32 s2, 0xffec
	s_mov_b32 s3, -1
	s_add_co_i32 s9, s9, 0xccccca0
	s_mul_u64 s[12:13], s[8:9], s[2:3]
	s_delay_alu instid0(SALU_CYCLE_1)
	s_mul_hi_u32 s15, s8, s13
	s_mul_i32 s14, s8, s13
	s_mul_hi_u32 s10, s8, s12
	s_mul_i32 s17, s9, s12
	s_add_nc_u64 s[14:15], s[10:11], s[14:15]
	s_mul_hi_u32 s16, s9, s12
	s_mul_hi_u32 s18, s9, s13
	s_wait_kmcnt 0x0
	s_load_b64 s[2:3], s[4:5], 0x8
	s_add_co_u32 s10, s14, s17
	s_add_co_ci_u32 s10, s15, s16
	s_mul_i32 s12, s9, s13
	s_add_co_ci_u32 s13, s18, 0
	s_delay_alu instid0(SALU_CYCLE_1) | instskip(NEXT) | instid1(SALU_CYCLE_1)
	s_add_nc_u64 s[12:13], s[10:11], s[12:13]
	v_add_co_u32 v1, s8, s8, s12
	s_delay_alu instid0(VALU_DEP_1) | instskip(SKIP_1) | instid1(VALU_DEP_1)
	s_cmp_lg_u32 s8, 0
	s_add_co_ci_u32 s14, s9, s13
	v_readfirstlane_b32 s15, v1
	s_wait_kmcnt 0x0
	s_add_nc_u64 s[8:9], s[2:3], -1
	s_wait_alu 0xfffe
	s_mul_hi_u32 s13, s8, s14
	s_mul_i32 s12, s8, s14
	s_mul_hi_u32 s10, s8, s15
	s_mul_hi_u32 s17, s9, s15
	s_mul_i32 s15, s9, s15
	s_wait_alu 0xfffe
	s_add_nc_u64 s[12:13], s[10:11], s[12:13]
	s_mul_hi_u32 s16, s9, s14
	s_wait_alu 0xfffe
	s_add_co_u32 s10, s12, s15
	s_add_co_ci_u32 s10, s13, s17
	s_mul_i32 s14, s9, s14
	s_add_co_ci_u32 s15, s16, 0
	s_delay_alu instid0(SALU_CYCLE_1) | instskip(SKIP_2) | instid1(SALU_CYCLE_1)
	s_add_nc_u64 s[12:13], s[10:11], s[14:15]
	s_wait_alu 0xfffe
	s_mul_u64 s[14:15], s[12:13], 20
	v_sub_co_u32 v1, s8, s8, s14
	s_delay_alu instid0(VALU_DEP_1) | instskip(SKIP_1) | instid1(VALU_DEP_1)
	s_cmp_lg_u32 s8, 0
	s_sub_co_ci_u32 s16, s9, s15
	v_sub_co_u32 v2, s10, v1, 20
	s_delay_alu instid0(VALU_DEP_1) | instskip(SKIP_2) | instid1(VALU_DEP_1)
	s_cmp_lg_u32 s10, 0
	s_add_nc_u64 s[14:15], s[12:13], 2
	s_sub_co_ci_u32 s10, s16, 0
	v_readfirstlane_b32 s8, v2
	s_delay_alu instid0(VALU_DEP_1)
	s_cmp_gt_u32 s8, 19
	s_add_nc_u64 s[8:9], s[12:13], 1
	s_cselect_b32 s17, -1, 0
	s_cmp_eq_u32 s10, 0
	s_cselect_b32 s10, s17, -1
	v_readfirstlane_b32 s17, v1
	s_cmp_lg_u32 s10, 0
	s_wait_alu 0xfffe
	s_cselect_b32 s8, s14, s8
	s_cselect_b32 s9, s15, s9
	s_cmp_gt_u32 s17, 19
	s_cselect_b32 s10, -1, 0
	s_cmp_eq_u32 s16, 0
	s_mov_b64 s[16:17], 0
	s_cselect_b32 s10, s10, -1
	s_delay_alu instid0(SALU_CYCLE_1)
	s_cmp_lg_u32 s10, 0
	s_mov_b32 s10, ttmp9
	s_wait_alu 0xfffe
	s_cselect_b32 s9, s9, s13
	s_cselect_b32 s8, s8, s12
	s_wait_alu 0xfffe
	s_add_nc_u64 s[12:13], s[8:9], 1
	s_wait_alu 0xfffe
	v_cmp_lt_u64_e64 s8, s[10:11], s[12:13]
	s_delay_alu instid0(VALU_DEP_1)
	s_and_b32 vcc_lo, exec_lo, s8
	s_cbranch_vccnz .LBB0_2
; %bb.1:
	v_cvt_f32_u32_e32 v1, s12
	s_sub_co_i32 s9, 0, s12
	s_mov_b32 s17, s11
	s_delay_alu instid0(VALU_DEP_1) | instskip(NEXT) | instid1(TRANS32_DEP_1)
	v_rcp_iflag_f32_e32 v1, v1
	v_mul_f32_e32 v1, 0x4f7ffffe, v1
	s_delay_alu instid0(VALU_DEP_1) | instskip(NEXT) | instid1(VALU_DEP_1)
	v_cvt_u32_f32_e32 v1, v1
	v_readfirstlane_b32 s8, v1
	s_wait_alu 0xfffe
	s_delay_alu instid0(VALU_DEP_1)
	s_mul_i32 s9, s9, s8
	s_wait_alu 0xfffe
	s_mul_hi_u32 s9, s8, s9
	s_wait_alu 0xfffe
	s_add_co_i32 s8, s8, s9
	s_wait_alu 0xfffe
	s_mul_hi_u32 s8, s10, s8
	s_wait_alu 0xfffe
	s_mul_i32 s9, s8, s12
	s_add_co_i32 s14, s8, 1
	s_wait_alu 0xfffe
	s_sub_co_i32 s9, s10, s9
	s_wait_alu 0xfffe
	s_sub_co_i32 s15, s9, s12
	s_cmp_ge_u32 s9, s12
	s_cselect_b32 s8, s14, s8
	s_wait_alu 0xfffe
	s_cselect_b32 s9, s15, s9
	s_add_co_i32 s14, s8, 1
	s_wait_alu 0xfffe
	s_cmp_ge_u32 s9, s12
	s_cselect_b32 s16, s14, s8
.LBB0_2:
	s_load_b64 s[22:23], s[4:5], 0x10
	s_load_b64 s[14:15], s[6:7], 0x8
	s_mov_b64 s[18:19], s[16:17]
	s_wait_kmcnt 0x0
	v_cmp_lt_u64_e64 s4, s[16:17], s[22:23]
	s_delay_alu instid0(VALU_DEP_1)
	s_and_b32 vcc_lo, exec_lo, s4
	s_cbranch_vccnz .LBB0_4
; %bb.3:
	v_cvt_f32_u32_e32 v1, s22
	s_sub_co_i32 s5, 0, s22
	s_mov_b32 s19, 0
	s_delay_alu instid0(VALU_DEP_1) | instskip(NEXT) | instid1(TRANS32_DEP_1)
	v_rcp_iflag_f32_e32 v1, v1
	v_mul_f32_e32 v1, 0x4f7ffffe, v1
	s_delay_alu instid0(VALU_DEP_1) | instskip(NEXT) | instid1(VALU_DEP_1)
	v_cvt_u32_f32_e32 v1, v1
	v_readfirstlane_b32 s4, v1
	s_delay_alu instid0(VALU_DEP_1) | instskip(NEXT) | instid1(SALU_CYCLE_1)
	s_mul_i32 s5, s5, s4
	s_mul_hi_u32 s5, s4, s5
	s_delay_alu instid0(SALU_CYCLE_1) | instskip(NEXT) | instid1(SALU_CYCLE_1)
	s_add_co_i32 s4, s4, s5
	s_mul_hi_u32 s4, s16, s4
	s_delay_alu instid0(SALU_CYCLE_1) | instskip(NEXT) | instid1(SALU_CYCLE_1)
	s_mul_i32 s4, s4, s22
	s_sub_co_i32 s4, s16, s4
	s_delay_alu instid0(SALU_CYCLE_1) | instskip(SKIP_2) | instid1(SALU_CYCLE_1)
	s_sub_co_i32 s5, s4, s22
	s_cmp_ge_u32 s4, s22
	s_cselect_b32 s4, s5, s4
	s_sub_co_i32 s5, s4, s22
	s_cmp_ge_u32 s4, s22
	s_cselect_b32 s18, s5, s4
.LBB0_4:
	s_load_b64 s[4:5], s[0:1], 0x50
	s_clause 0x1
	s_load_b64 s[8:9], s[6:7], 0x0
	s_load_b64 s[20:21], s[6:7], 0x10
	s_mul_u64 s[24:25], s[22:23], s[12:13]
	s_mov_b64 s[22:23], 0
	s_wait_kmcnt 0x0
	v_cmp_lt_u64_e64 s9, s[10:11], s[24:25]
	s_delay_alu instid0(VALU_DEP_1)
	s_and_b32 vcc_lo, exec_lo, s9
	s_cbranch_vccnz .LBB0_6
; %bb.5:
	v_cvt_f32_u32_e32 v1, s24
	s_sub_co_i32 s22, 0, s24
	s_delay_alu instid0(VALU_DEP_1) | instskip(NEXT) | instid1(TRANS32_DEP_1)
	v_rcp_iflag_f32_e32 v1, v1
	v_mul_f32_e32 v1, 0x4f7ffffe, v1
	s_delay_alu instid0(VALU_DEP_1) | instskip(NEXT) | instid1(VALU_DEP_1)
	v_cvt_u32_f32_e32 v1, v1
	v_readfirstlane_b32 s9, v1
	s_wait_alu 0xfffe
	s_delay_alu instid0(VALU_DEP_1)
	s_mul_i32 s22, s22, s9
	s_wait_alu 0xfffe
	s_mul_hi_u32 s22, s9, s22
	s_wait_alu 0xfffe
	s_add_co_i32 s9, s9, s22
	s_wait_alu 0xfffe
	s_mul_hi_u32 s9, s10, s9
	s_wait_alu 0xfffe
	s_mul_i32 s22, s9, s24
	s_add_co_i32 s23, s9, 1
	s_wait_alu 0xfffe
	s_sub_co_i32 s22, s10, s22
	s_wait_alu 0xfffe
	s_sub_co_i32 s25, s22, s24
	s_cmp_ge_u32 s22, s24
	s_cselect_b32 s9, s23, s9
	s_wait_alu 0xfffe
	s_cselect_b32 s22, s25, s22
	s_add_co_i32 s25, s9, 1
	s_wait_alu 0xfffe
	s_cmp_ge_u32 s22, s24
	s_mov_b32 s23, 0
	s_cselect_b32 s22, s25, s9
.LBB0_6:
	v_mul_u32_u24_e32 v1, 0xccd, v0
	s_load_b64 s[6:7], s[6:7], 0x18
	s_mul_u64 s[12:13], s[16:17], s[12:13]
	v_mov_b32_e32 v4, 0
	s_wait_alu 0xfffe
	s_sub_nc_u64 s[10:11], s[10:11], s[12:13]
	v_lshrrev_b32_e32 v121, 16, v1
	s_wait_alu 0xfffe
	s_mul_u64 s[10:11], s[10:11], 20
	s_mul_u64 s[12:13], s[20:21], s[18:19]
	s_wait_alu 0xfffe
	s_add_nc_u64 s[18:19], s[10:11], 20
	s_mul_u64 s[16:17], s[14:15], s[10:11]
	v_mul_lo_u16 v1, v121, 20
	s_wait_alu 0xfffe
	s_add_nc_u64 s[12:13], s[12:13], s[16:17]
	s_delay_alu instid0(VALU_DEP_1) | instskip(NEXT) | instid1(VALU_DEP_1)
	v_sub_nc_u16 v1, v0, v1
	v_and_b32_e32 v34, 0xffff, v1
	s_wait_kmcnt 0x0
	s_mul_u64 s[6:7], s[6:7], s[22:23]
	s_wait_alu 0xfffe
	s_add_nc_u64 s[6:7], s[6:7], s[12:13]
	v_mad_co_u64_u32 v[53:54], null, s14, v34, 0
	s_delay_alu instid0(VALU_DEP_1)
	v_mov_b32_e32 v1, v54
	v_add_co_u32 v69, s9, s10, v34
	s_wait_alu 0xf1ff
	v_add_co_ci_u32_e64 v70, null, s11, 0, s9
	v_cmp_le_u64_e64 s9, s[18:19], s[2:3]
	v_mad_co_u64_u32 v[1:2], null, s15, v34, v[1:2]
	s_delay_alu instid0(VALU_DEP_3) | instskip(SKIP_1) | instid1(VALU_DEP_4)
	v_cmp_gt_u64_e32 vcc_lo, s[2:3], v[69:70]
	v_dual_mov_b32 v2, 0 :: v_dual_mov_b32 v1, 0
	s_or_b32 s3, s9, vcc_lo
	s_wait_alu 0xfffe
	s_and_saveexec_b32 s7, s3
	s_cbranch_execz .LBB0_8
; %bb.7:
	v_mul_lo_u32 v1, s8, v121
	v_mov_b32_e32 v2, 0
	s_delay_alu instid0(VALU_DEP_2) | instskip(NEXT) | instid1(VALU_DEP_1)
	v_add3_u32 v1, s6, v53, v1
	v_lshlrev_b64_e32 v[1:2], 3, v[1:2]
	s_delay_alu instid0(VALU_DEP_1) | instskip(SKIP_1) | instid1(VALU_DEP_2)
	v_add_co_u32 v1, s2, s4, v1
	s_wait_alu 0xf1ff
	v_add_co_ci_u32_e64 v2, s2, s5, v2, s2
	global_load_b64 v[1:2], v[1:2], off
.LBB0_8:
	s_or_b32 exec_lo, exec_lo, s7
	v_or_b32_e32 v120, 0x50, v121
	v_mov_b32_e32 v3, 0
	s_and_saveexec_b32 s7, s3
	s_cbranch_execz .LBB0_10
; %bb.9:
	s_delay_alu instid0(VALU_DEP_2) | instskip(SKIP_1) | instid1(VALU_DEP_2)
	v_mul_lo_u32 v3, s8, v120
	v_mov_b32_e32 v4, 0
	v_add3_u32 v3, s6, v53, v3
	s_delay_alu instid0(VALU_DEP_1) | instskip(NEXT) | instid1(VALU_DEP_1)
	v_lshlrev_b64_e32 v[3:4], 3, v[3:4]
	v_add_co_u32 v3, s2, s4, v3
	s_wait_alu 0xf1ff
	s_delay_alu instid0(VALU_DEP_2)
	v_add_co_ci_u32_e64 v4, s2, s5, v4, s2
	global_load_b64 v[3:4], v[3:4], off
.LBB0_10:
	s_wait_alu 0xfffe
	s_or_b32 exec_lo, exec_lo, s7
	v_dual_mov_b32 v8, 0 :: v_dual_add_nc_u32 v119, 10, v121
	v_dual_mov_b32 v6, 0 :: v_dual_mov_b32 v5, 0
	s_and_saveexec_b32 s7, s3
	s_cbranch_execz .LBB0_12
; %bb.11:
	s_delay_alu instid0(VALU_DEP_2) | instskip(SKIP_1) | instid1(VALU_DEP_2)
	v_mul_lo_u32 v5, s8, v119
	v_mov_b32_e32 v6, 0
	v_add3_u32 v5, s6, v53, v5
	s_delay_alu instid0(VALU_DEP_1) | instskip(NEXT) | instid1(VALU_DEP_1)
	v_lshlrev_b64_e32 v[5:6], 3, v[5:6]
	v_add_co_u32 v5, s2, s4, v5
	s_wait_alu 0xf1ff
	s_delay_alu instid0(VALU_DEP_2)
	v_add_co_ci_u32_e64 v6, s2, s5, v6, s2
	global_load_b64 v[5:6], v[5:6], off
.LBB0_12:
	s_wait_alu 0xfffe
	s_or_b32 exec_lo, exec_lo, s7
	v_mov_b32_e32 v7, 0
	s_and_saveexec_b32 s7, s3
	s_cbranch_execz .LBB0_14
; %bb.13:
	v_dual_mov_b32 v8, 0 :: v_dual_add_nc_u32 v7, 0x5a, v121
	s_delay_alu instid0(VALU_DEP_1) | instskip(NEXT) | instid1(VALU_DEP_1)
	v_mul_lo_u32 v7, s8, v7
	v_add3_u32 v7, s6, v53, v7
	s_delay_alu instid0(VALU_DEP_1) | instskip(NEXT) | instid1(VALU_DEP_1)
	v_lshlrev_b64_e32 v[7:8], 3, v[7:8]
	v_add_co_u32 v7, s2, s4, v7
	s_wait_alu 0xf1ff
	s_delay_alu instid0(VALU_DEP_2)
	v_add_co_ci_u32_e64 v8, s2, s5, v8, s2
	global_load_b64 v[7:8], v[7:8], off
.LBB0_14:
	s_wait_alu 0xfffe
	s_or_b32 exec_lo, exec_lo, s7
	v_dual_mov_b32 v12, 0 :: v_dual_mov_b32 v9, 0
	v_mov_b32_e32 v10, 0
	s_and_saveexec_b32 s7, s3
	s_cbranch_execz .LBB0_16
; %bb.15:
	v_dual_mov_b32 v10, 0 :: v_dual_add_nc_u32 v9, 20, v121
	s_delay_alu instid0(VALU_DEP_1) | instskip(NEXT) | instid1(VALU_DEP_1)
	v_mul_lo_u32 v9, s8, v9
	v_add3_u32 v9, s6, v53, v9
	s_delay_alu instid0(VALU_DEP_1) | instskip(NEXT) | instid1(VALU_DEP_1)
	v_lshlrev_b64_e32 v[9:10], 3, v[9:10]
	v_add_co_u32 v9, s2, s4, v9
	s_wait_alu 0xf1ff
	s_delay_alu instid0(VALU_DEP_2)
	v_add_co_ci_u32_e64 v10, s2, s5, v10, s2
	global_load_b64 v[9:10], v[9:10], off
.LBB0_16:
	s_wait_alu 0xfffe
	s_or_b32 exec_lo, exec_lo, s7
	v_mov_b32_e32 v11, 0
	s_and_saveexec_b32 s7, s3
	s_cbranch_execz .LBB0_18
; %bb.17:
	v_dual_mov_b32 v12, 0 :: v_dual_add_nc_u32 v11, 0x64, v121
	s_delay_alu instid0(VALU_DEP_1) | instskip(NEXT) | instid1(VALU_DEP_1)
	v_mul_lo_u32 v11, s8, v11
	v_add3_u32 v11, s6, v53, v11
	s_delay_alu instid0(VALU_DEP_1) | instskip(NEXT) | instid1(VALU_DEP_1)
	v_lshlrev_b64_e32 v[11:12], 3, v[11:12]
	v_add_co_u32 v11, s2, s4, v11
	s_wait_alu 0xf1ff
	s_delay_alu instid0(VALU_DEP_2)
	v_add_co_ci_u32_e64 v12, s2, s5, v12, s2
	global_load_b64 v[11:12], v[11:12], off
.LBB0_18:
	s_wait_alu 0xfffe
	s_or_b32 exec_lo, exec_lo, s7
	v_dual_mov_b32 v16, 0 :: v_dual_mov_b32 v13, 0
	v_mov_b32_e32 v14, 0
	s_and_saveexec_b32 s7, s3
	s_cbranch_execz .LBB0_20
; %bb.19:
	v_dual_mov_b32 v14, 0 :: v_dual_add_nc_u32 v13, 30, v121
	s_delay_alu instid0(VALU_DEP_1) | instskip(NEXT) | instid1(VALU_DEP_1)
	v_mul_lo_u32 v13, s8, v13
	v_add3_u32 v13, s6, v53, v13
	s_delay_alu instid0(VALU_DEP_1) | instskip(NEXT) | instid1(VALU_DEP_1)
	v_lshlrev_b64_e32 v[13:14], 3, v[13:14]
	v_add_co_u32 v13, s2, s4, v13
	s_wait_alu 0xf1ff
	s_delay_alu instid0(VALU_DEP_2)
	v_add_co_ci_u32_e64 v14, s2, s5, v14, s2
	global_load_b64 v[13:14], v[13:14], off
.LBB0_20:
	s_wait_alu 0xfffe
	s_or_b32 exec_lo, exec_lo, s7
	v_mov_b32_e32 v15, 0
	s_and_saveexec_b32 s7, s3
	s_cbranch_execz .LBB0_22
; %bb.21:
	v_dual_mov_b32 v16, 0 :: v_dual_add_nc_u32 v15, 0x6e, v121
	s_delay_alu instid0(VALU_DEP_1) | instskip(NEXT) | instid1(VALU_DEP_1)
	v_mul_lo_u32 v15, s8, v15
	v_add3_u32 v15, s6, v53, v15
	s_delay_alu instid0(VALU_DEP_1) | instskip(NEXT) | instid1(VALU_DEP_1)
	v_lshlrev_b64_e32 v[15:16], 3, v[15:16]
	v_add_co_u32 v15, s2, s4, v15
	s_wait_alu 0xf1ff
	s_delay_alu instid0(VALU_DEP_2)
	v_add_co_ci_u32_e64 v16, s2, s5, v16, s2
	global_load_b64 v[15:16], v[15:16], off
.LBB0_22:
	s_wait_alu 0xfffe
	s_or_b32 exec_lo, exec_lo, s7
	v_dual_mov_b32 v20, 0 :: v_dual_add_nc_u32 v33, 40, v121
	v_dual_mov_b32 v18, 0 :: v_dual_mov_b32 v17, 0
	s_and_saveexec_b32 s7, s3
	s_cbranch_execz .LBB0_24
; %bb.23:
	s_delay_alu instid0(VALU_DEP_2) | instskip(SKIP_1) | instid1(VALU_DEP_2)
	v_mul_lo_u32 v17, s8, v33
	v_mov_b32_e32 v18, 0
	v_add3_u32 v17, s6, v53, v17
	s_delay_alu instid0(VALU_DEP_1) | instskip(NEXT) | instid1(VALU_DEP_1)
	v_lshlrev_b64_e32 v[17:18], 3, v[17:18]
	v_add_co_u32 v17, s2, s4, v17
	s_wait_alu 0xf1ff
	s_delay_alu instid0(VALU_DEP_2)
	v_add_co_ci_u32_e64 v18, s2, s5, v18, s2
	global_load_b64 v[17:18], v[17:18], off
.LBB0_24:
	s_wait_alu 0xfffe
	s_or_b32 exec_lo, exec_lo, s7
	v_mov_b32_e32 v19, 0
	s_and_saveexec_b32 s7, s3
	s_cbranch_execz .LBB0_26
; %bb.25:
	v_dual_mov_b32 v20, 0 :: v_dual_add_nc_u32 v19, 0x78, v121
	s_delay_alu instid0(VALU_DEP_1) | instskip(NEXT) | instid1(VALU_DEP_1)
	v_mul_lo_u32 v19, s8, v19
	v_add3_u32 v19, s6, v53, v19
	s_delay_alu instid0(VALU_DEP_1) | instskip(NEXT) | instid1(VALU_DEP_1)
	v_lshlrev_b64_e32 v[19:20], 3, v[19:20]
	v_add_co_u32 v19, s2, s4, v19
	s_wait_alu 0xf1ff
	s_delay_alu instid0(VALU_DEP_2)
	v_add_co_ci_u32_e64 v20, s2, s5, v20, s2
	global_load_b64 v[19:20], v[19:20], off
.LBB0_26:
	s_wait_alu 0xfffe
	s_or_b32 exec_lo, exec_lo, s7
	v_dual_mov_b32 v24, 0 :: v_dual_mov_b32 v21, 0
	v_mov_b32_e32 v22, 0
	s_and_saveexec_b32 s7, s3
	s_cbranch_execz .LBB0_28
; %bb.27:
	v_dual_mov_b32 v22, 0 :: v_dual_add_nc_u32 v21, 50, v121
	s_delay_alu instid0(VALU_DEP_1) | instskip(NEXT) | instid1(VALU_DEP_1)
	v_mul_lo_u32 v21, s8, v21
	v_add3_u32 v21, s6, v53, v21
	s_delay_alu instid0(VALU_DEP_1) | instskip(NEXT) | instid1(VALU_DEP_1)
	v_lshlrev_b64_e32 v[21:22], 3, v[21:22]
	v_add_co_u32 v21, s2, s4, v21
	s_wait_alu 0xf1ff
	s_delay_alu instid0(VALU_DEP_2)
	v_add_co_ci_u32_e64 v22, s2, s5, v22, s2
	global_load_b64 v[21:22], v[21:22], off
.LBB0_28:
	s_wait_alu 0xfffe
	s_or_b32 exec_lo, exec_lo, s7
	v_mov_b32_e32 v23, 0
	s_and_saveexec_b32 s7, s3
	s_cbranch_execz .LBB0_30
; %bb.29:
	v_dual_mov_b32 v24, 0 :: v_dual_add_nc_u32 v23, 0x82, v121
	s_delay_alu instid0(VALU_DEP_1) | instskip(NEXT) | instid1(VALU_DEP_1)
	v_mul_lo_u32 v23, s8, v23
	v_add3_u32 v23, s6, v53, v23
	s_delay_alu instid0(VALU_DEP_1) | instskip(NEXT) | instid1(VALU_DEP_1)
	v_lshlrev_b64_e32 v[23:24], 3, v[23:24]
	v_add_co_u32 v23, s2, s4, v23
	s_wait_alu 0xf1ff
	s_delay_alu instid0(VALU_DEP_2)
	v_add_co_ci_u32_e64 v24, s2, s5, v24, s2
	global_load_b64 v[23:24], v[23:24], off
.LBB0_30:
	s_wait_alu 0xfffe
	s_or_b32 exec_lo, exec_lo, s7
	v_dual_mov_b32 v28, 0 :: v_dual_add_nc_u32 v35, 60, v121
	v_dual_mov_b32 v26, 0 :: v_dual_mov_b32 v25, 0
	s_and_saveexec_b32 s7, s3
	s_cbranch_execz .LBB0_32
; %bb.31:
	s_delay_alu instid0(VALU_DEP_2) | instskip(SKIP_1) | instid1(VALU_DEP_2)
	v_mul_lo_u32 v25, s8, v35
	v_mov_b32_e32 v26, 0
	v_add3_u32 v25, s6, v53, v25
	s_delay_alu instid0(VALU_DEP_1) | instskip(NEXT) | instid1(VALU_DEP_1)
	v_lshlrev_b64_e32 v[25:26], 3, v[25:26]
	v_add_co_u32 v25, s2, s4, v25
	s_wait_alu 0xf1ff
	s_delay_alu instid0(VALU_DEP_2)
	v_add_co_ci_u32_e64 v26, s2, s5, v26, s2
	global_load_b64 v[25:26], v[25:26], off
.LBB0_32:
	s_wait_alu 0xfffe
	s_or_b32 exec_lo, exec_lo, s7
	v_mov_b32_e32 v27, 0
	s_and_saveexec_b32 s7, s3
	s_cbranch_execz .LBB0_34
; %bb.33:
	v_dual_mov_b32 v28, 0 :: v_dual_add_nc_u32 v27, 0x8c, v121
	s_delay_alu instid0(VALU_DEP_1) | instskip(NEXT) | instid1(VALU_DEP_1)
	v_mul_lo_u32 v27, s8, v27
	v_add3_u32 v27, s6, v53, v27
	s_delay_alu instid0(VALU_DEP_1) | instskip(NEXT) | instid1(VALU_DEP_1)
	v_lshlrev_b64_e32 v[27:28], 3, v[27:28]
	v_add_co_u32 v27, s2, s4, v27
	s_wait_alu 0xf1ff
	s_delay_alu instid0(VALU_DEP_2)
	v_add_co_ci_u32_e64 v28, s2, s5, v28, s2
	global_load_b64 v[27:28], v[27:28], off
.LBB0_34:
	s_wait_alu 0xfffe
	s_or_b32 exec_lo, exec_lo, s7
	s_load_b64 s[10:11], s[0:1], 0x0
	v_dual_mov_b32 v32, 0 :: v_dual_mov_b32 v29, 0
	v_mov_b32_e32 v30, 0
	s_and_saveexec_b32 s7, s3
	s_cbranch_execz .LBB0_36
; %bb.35:
	v_dual_mov_b32 v30, 0 :: v_dual_add_nc_u32 v29, 0x46, v121
	s_delay_alu instid0(VALU_DEP_1) | instskip(NEXT) | instid1(VALU_DEP_1)
	v_mul_lo_u32 v29, s8, v29
	v_add3_u32 v29, s6, v53, v29
	s_delay_alu instid0(VALU_DEP_1) | instskip(NEXT) | instid1(VALU_DEP_1)
	v_lshlrev_b64_e32 v[29:30], 3, v[29:30]
	v_add_co_u32 v29, s2, s4, v29
	s_wait_alu 0xf1ff
	s_delay_alu instid0(VALU_DEP_2)
	v_add_co_ci_u32_e64 v30, s2, s5, v30, s2
	global_load_b64 v[29:30], v[29:30], off
.LBB0_36:
	s_wait_alu 0xfffe
	s_or_b32 exec_lo, exec_lo, s7
	v_mov_b32_e32 v31, 0
	s_and_saveexec_b32 s7, s3
	s_cbranch_execz .LBB0_38
; %bb.37:
	v_dual_mov_b32 v32, 0 :: v_dual_add_nc_u32 v31, 0x96, v121
	s_delay_alu instid0(VALU_DEP_1) | instskip(NEXT) | instid1(VALU_DEP_1)
	v_mul_lo_u32 v31, s8, v31
	v_add3_u32 v31, s6, v53, v31
	s_delay_alu instid0(VALU_DEP_1) | instskip(NEXT) | instid1(VALU_DEP_1)
	v_lshlrev_b64_e32 v[31:32], 3, v[31:32]
	v_add_co_u32 v31, s2, s4, v31
	s_wait_alu 0xf1ff
	s_delay_alu instid0(VALU_DEP_2)
	v_add_co_ci_u32_e64 v32, s2, s5, v32, s2
	global_load_b64 v[31:32], v[31:32], off
.LBB0_38:
	s_wait_alu 0xfffe
	s_or_b32 exec_lo, exec_lo, s7
	s_wait_loadcnt 0x0
	v_dual_sub_f32 v36, v17, v19 :: v_dual_sub_f32 v37, v18, v20
	v_dual_sub_f32 v19, v21, v23 :: v_dual_sub_f32 v20, v22, v24
	v_mul_u32_u24_e32 v24, 0x140, v121
	v_dual_sub_f32 v27, v25, v27 :: v_dual_lshlrev_b32 v42, 3, v34
	v_dual_sub_f32 v3, v1, v3 :: v_dual_sub_f32 v4, v2, v4
	v_dual_sub_f32 v7, v5, v7 :: v_dual_sub_f32 v8, v6, v8
	;; [unrolled: 1-line block ×3, first 2 shown]
	s_delay_alu instid0(VALU_DEP_4)
	v_add3_u32 v31, 0, v24, v42
	v_dual_sub_f32 v11, v9, v11 :: v_dual_sub_f32 v12, v10, v12
	v_dual_sub_f32 v15, v13, v15 :: v_dual_sub_f32 v16, v14, v16
	v_fma_f32 v1, v1, 2.0, -v3
	v_fma_f32 v2, v2, 2.0, -v4
	;; [unrolled: 1-line block ×5, first 2 shown]
	v_sub_f32_e32 v24, v30, v32
	v_fma_f32 v25, v29, 2.0, -v23
	v_add_nc_u32_e32 v29, 0x800, v31
	v_fma_f32 v9, v9, 2.0, -v11
	v_fma_f32 v10, v10, 2.0, -v12
	v_add_nc_u32_e32 v32, 0x1800, v31
	v_fma_f32 v13, v13, 2.0, -v15
	v_fma_f32 v14, v14, 2.0, -v16
	v_add_nc_u32_e32 v39, 0x2000, v31
	ds_store_2addr_b64 v31, v[1:2], v[3:4] offset1:20
	ds_store_2addr_b64 v29, v[5:6], v[7:8] offset0:144 offset1:164
	ds_store_2addr_b64 v32, v[9:10], v[11:12] offset0:32 offset1:52
	;; [unrolled: 1-line block ×3, first 2 shown]
	v_and_b32_e32 v2, 1, v121
	v_fma_f32 v17, v17, 2.0, -v36
	v_fma_f32 v18, v18, 2.0, -v37
	v_add_nc_u32_e32 v1, 0x3000, v31
	v_fma_f32 v21, v21, 2.0, -v19
	v_fma_f32 v22, v22, 2.0, -v20
	v_add_nc_u32_e32 v3, 0x3800, v31
	v_mul_u32_u24_e32 v2, 7, v2
	v_fma_f32 v38, v26, 2.0, -v28
	v_add_nc_u32_e32 v4, 0x4800, v31
	v_fma_f32 v26, v30, 2.0, -v24
	ds_store_b64 v31, v[17:18] offset:12800
	ds_store_2addr_b32 v1, v36, v37 offset0:168 offset1:169
	v_add_nc_u32_e32 v1, 0x5400, v31
	ds_store_2addr_b64 v3, v[21:22], v[19:20] offset0:208 offset1:228
	ds_store_2addr_b32 v4, v34, v38 offset0:192 offset1:193
	ds_store_2addr_b32 v4, v27, v28 offset0:232 offset1:233
	ds_store_2addr_b64 v1, v[25:26], v[23:24] offset0:112 offset1:132
	v_lshlrev_b32_e32 v1, 3, v2
	global_wb scope:SCOPE_SE
	s_wait_dscnt 0x0
	s_wait_kmcnt 0x0
	s_barrier_signal -1
	s_barrier_wait -1
	global_inv scope:SCOPE_SE
	s_clause 0x3
	global_load_b128 v[4:7], v1, s[10:11]
	global_load_b128 v[8:11], v1, s[10:11] offset:16
	global_load_b128 v[12:15], v1, s[10:11] offset:32
	global_load_b64 v[1:2], v1, s[10:11] offset:48
	v_mul_u32_u24_e32 v3, 0xa0, v121
	v_lshl_or_b32 v16, v121, 3, v121
	v_lshl_or_b32 v18, v119, 3, v121
	v_add_nc_u32_e32 v22, 0x3200, v31
	v_add_nc_u32_e32 v23, 0x4b00, v31
	v_add3_u32 v17, 0, v3, v42
	v_and_b32_e32 v3, 0x71, v16
	v_and_b32_e32 v16, 0xf1, v18
	v_mad_i32_i24 v36, 0xffffff60, v33, v22
	v_mad_i32_i24 v43, 0xffffff60, v35, v23
	v_add_nc_u32_e32 v18, 0xc00, v17
	v_add_nc_u32_e32 v24, 0x2b00, v17
	v_add_nc_u32_e32 v26, 0x3800, v17
	v_add_nc_u32_e32 v30, 0x4400, v17
	v_add_nc_u32_e32 v34, 0x5000, v17
	ds_load_2addr_b64 v[18:21], v18 offset0:16 offset1:216
	ds_load_2addr_b64 v[22:25], v24 offset0:24 offset1:224
	;; [unrolled: 1-line block ×4, first 2 shown]
	ds_load_b64 v[38:39], v36
	ds_load_2addr_b64 v[34:37], v34 offset0:40 offset1:240
	ds_load_b64 v[40:41], v43
	s_mov_b32 s7, exec_lo
                                        ; implicit-def: $vgpr114
	s_wait_loadcnt_dscnt 0x302
	v_mul_f32_e32 v58, v7, v39
	v_mul_u32_u24_e32 v3, 0xa0, v3
	s_wait_loadcnt 0x2
	v_mul_f32_e32 v63, v24, v11
	v_mul_u32_u24_e32 v16, 0xa0, v16
	v_mul_f32_e32 v56, v5, v19
	v_mul_f32_e32 v57, v5, v18
	v_add3_u32 v50, 0, v3, v42
	v_add_nc_u32_e32 v3, 0xffffe0c0, v43
	v_add3_u32 v51, 0, v16, v42
	v_fmac_f32_e32 v56, v4, v18
	ds_load_b64 v[42:43], v17
	ds_load_b64 v[44:45], v17 offset:8000
	ds_load_b64 v[46:47], v17 offset:24000
	ds_load_b32 v16, v3
	ds_load_b64 v[48:49], v3
	ds_load_b32 v55, v3 offset:4
	v_dual_mul_f32 v71, v21, v5 :: v_dual_add_nc_u32 v52, 0x400, v50
	v_dual_mul_f32 v5, v20, v5 :: v_dual_add_nc_u32 v54, 0x400, v51
	v_dual_mul_f32 v59, v7, v38 :: v_dual_mul_f32 v62, v25, v11
	v_mul_f32_e32 v73, v23, v9
	v_mul_f32_e32 v74, v27, v11
	s_wait_dscnt 0x6
	v_dual_mul_f32 v11, v26, v11 :: v_dual_mul_f32 v60, v9, v41
	v_mul_f32_e32 v61, v9, v40
	s_wait_loadcnt 0x1
	v_mul_f32_e32 v64, v29, v13
	v_dual_mul_f32 v66, v33, v15 :: v_dual_mul_f32 v9, v22, v9
	s_wait_loadcnt 0x0
	v_dual_mul_f32 v67, v32, v15 :: v_dual_mul_f32 v68, v37, v2
	s_wait_dscnt 0x4
	v_dual_mul_f32 v72, v45, v7 :: v_dual_mul_f32 v75, v31, v13
	v_mul_f32_e32 v7, v44, v7
	v_dual_mul_f32 v76, v35, v15 :: v_dual_fmac_f32 v71, v20, v4
	v_mul_f32_e32 v15, v34, v15
	s_wait_dscnt 0x3
	v_mul_f32_e32 v77, v47, v2
	v_fma_f32 v18, v4, v19, -v57
	v_fma_f32 v4, v21, v4, -v5
	;; [unrolled: 1-line block ×4, first 2 shown]
	v_mul_f32_e32 v65, v28, v13
	v_dual_mul_f32 v70, v36, v2 :: v_dual_mul_f32 v13, v30, v13
	v_mul_f32_e32 v2, v46, v2
	v_fma_f32 v19, v6, v39, -v59
	v_dual_fmac_f32 v60, v8, v40 :: v_dual_fmac_f32 v77, v46, v1
	v_dual_fmac_f32 v62, v24, v10 :: v_dual_fmac_f32 v73, v22, v8
	v_fma_f32 v24, v25, v10, -v63
	v_dual_fmac_f32 v66, v32, v14 :: v_dual_fmac_f32 v75, v30, v12
	v_fmac_f32_e32 v64, v28, v12
	v_fmac_f32_e32 v58, v6, v38
	s_wait_dscnt 0x1
	v_dual_fmac_f32 v68, v36, v1 :: v_dual_sub_f32 v7, v49, v7
	v_fmac_f32_e32 v72, v44, v6
	v_fma_f32 v6, v23, v8, -v9
	v_fmac_f32_e32 v74, v26, v10
	v_dual_fmac_f32 v76, v34, v14 :: v_dual_sub_f32 v23, v71, v75
	v_fma_f32 v9, v35, v14, -v15
	v_fma_f32 v38, v8, v41, -v61
	;; [unrolled: 1-line block ×7, first 2 shown]
	v_sub_f32_e32 v13, v56, v64
	v_sub_f32_e32 v11, v58, v66
	;; [unrolled: 1-line block ×3, first 2 shown]
	v_dual_sub_f32 v10, v43, v24 :: v_dual_sub_f32 v21, v48, v74
	v_dual_sub_f32 v9, v5, v9 :: v_dual_sub_f32 v2, v42, v62
	v_sub_f32_e32 v22, v72, v76
	v_dual_sub_f32 v12, v19, v28 :: v_dual_sub_f32 v1, v6, v1
	v_fma_f32 v27, v58, 2.0, -v11
	v_sub_f32_e32 v11, v10, v11
	s_delay_alu instid0(VALU_DEP_4) | instskip(SKIP_3) | instid1(VALU_DEP_4)
	v_dual_sub_f32 v14, v18, v25 :: v_dual_sub_f32 v35, v7, v22
	v_sub_f32_e32 v8, v4, v8
	v_fma_f32 v5, v5, 2.0, -v9
	v_add_f32_e32 v9, v21, v9
	v_sub_f32_e32 v31, v14, v15
	v_fma_f32 v25, v42, 2.0, -v2
	v_sub_f32_e32 v20, v38, v29
	v_fma_f32 v26, v43, 2.0, -v10
	v_fma_f32 v19, v19, 2.0, -v12
	v_fma_f32 v28, v56, 2.0, -v13
	v_sub_f32_e32 v27, v25, v27
	v_fma_f32 v18, v18, 2.0, -v14
	v_fma_f32 v29, v60, 2.0, -v15
	;; [unrolled: 4-line block ×3, first 2 shown]
	v_add_f32_e32 v12, v2, v12
	v_fma_f32 v4, v4, 2.0, -v8
	v_fma_f32 v6, v6, 2.0, -v1
	v_add_f32_e32 v20, v13, v20
	s_wait_dscnt 0x0
	v_fma_f32 v33, v55, 2.0, -v7
	v_fma_f32 v34, v71, 2.0, -v23
	;; [unrolled: 1-line block ×3, first 2 shown]
	v_sub_f32_e32 v10, v28, v29
	v_sub_f32_e32 v39, v32, v15
	v_fma_f32 v37, v2, 2.0, -v12
	v_fma_f32 v42, v7, 2.0, -v35
	v_dual_sub_f32 v7, v4, v6 :: v_dual_add_f32 v22, v23, v1
	v_fma_f32 v29, v13, 2.0, -v20
	v_dual_fmamk_f32 v13, v20, 0x3f3504f3, v12 :: v_dual_sub_f32 v36, v26, v19
	v_sub_f32_e32 v19, v18, v30
	v_fma_f32 v16, v73, 2.0, -v24
	s_delay_alu instid0(VALU_DEP_4)
	v_dual_fmamk_f32 v15, v29, 0xbf3504f3, v37 :: v_dual_sub_f32 v24, v8, v24
	v_fmamk_f32 v1, v22, 0x3f3504f3, v9
	v_fma_f32 v30, v14, 2.0, -v31
	v_dual_sub_f32 v40, v33, v5 :: v_dual_fmac_f32 v13, 0x3f3504f3, v31
	v_fma_f32 v41, v21, 2.0, -v9
	v_dual_sub_f32 v21, v34, v16 :: v_dual_fmamk_f32 v14, v31, 0x3f3504f3, v11
	v_fma_f32 v43, v23, 2.0, -v22
	v_fma_f32 v44, v8, 2.0, -v24
	;; [unrolled: 1-line block ×6, first 2 shown]
	v_dual_fmamk_f32 v16, v30, 0xbf3504f3, v38 :: v_dual_fmamk_f32 v5, v43, 0xbf3504f3, v41
	v_dual_add_f32 v18, v27, v19 :: v_dual_fmac_f32 v1, 0x3f3504f3, v24
	v_dual_sub_f32 v19, v36, v10 :: v_dual_fmac_f32 v14, 0xbf3504f3, v20
	v_fma_f32 v31, v32, 2.0, -v39
	v_fma_f32 v32, v33, 2.0, -v40
	;; [unrolled: 1-line block ×4, first 2 shown]
	v_fmamk_f32 v6, v44, 0xbf3504f3, v42
	v_dual_fmamk_f32 v2, v24, 0x3f3504f3, v35 :: v_dual_add_f32 v7, v39, v7
	v_dual_sub_f32 v8, v40, v21 :: v_dual_fmac_f32 v15, 0x3f3504f3, v30
	v_dual_sub_f32 v20, v45, v23 :: v_dual_fmac_f32 v5, 0x3f3504f3, v44
	v_sub_f32_e32 v21, v46, v25
	v_fmac_f32_e32 v16, 0xbf3504f3, v29
	v_fma_f32 v24, v12, 2.0, -v13
	v_fma_f32 v25, v11, 2.0, -v14
	v_dual_sub_f32 v11, v31, v10 :: v_dual_sub_f32 v12, v32, v4
	v_fmac_f32_e32 v6, 0xbf3504f3, v43
	v_fmac_f32_e32 v2, 0xbf3504f3, v22
	v_fma_f32 v22, v27, 2.0, -v18
	v_fma_f32 v23, v36, 2.0, -v19
	;; [unrolled: 1-line block ×10, first 2 shown]
	global_wb scope:SCOPE_SE
	s_barrier_signal -1
	s_barrier_wait -1
	global_inv scope:SCOPE_SE
	v_fma_f32 v70, v39, 2.0, -v7
	v_fma_f32 v71, v40, 2.0, -v8
	v_fma_f32 v9, v9, 2.0, -v1
	v_fma_f32 v10, v35, 2.0, -v2
	ds_store_2addr_b64 v52, v[18:19], v[13:14] offset0:112 offset1:152
	ds_store_2addr_b64 v50, v[22:23], v[24:25] offset0:80 offset1:120
	;; [unrolled: 1-line block ×3, first 2 shown]
	ds_store_2addr_b64 v50, v[26:27], v[28:29] offset1:40
	ds_store_2addr_b64 v51, v[30:31], v[32:33] offset1:40
	ds_store_2addr_b64 v51, v[70:71], v[9:10] offset0:80 offset1:120
	ds_store_2addr_b64 v51, v[11:12], v[5:6] offset0:160 offset1:200
	;; [unrolled: 1-line block ×3, first 2 shown]
	global_wb scope:SCOPE_SE
	s_wait_dscnt 0x0
	s_barrier_signal -1
	s_barrier_wait -1
	global_inv scope:SCOPE_SE
	ds_load_2addr_stride64_b64 v[33:36], v17 offset1:5
	ds_load_2addr_stride64_b64 v[37:40], v17 offset0:10 offset1:15
	ds_load_2addr_stride64_b64 v[41:44], v17 offset0:20 offset1:25
	;; [unrolled: 1-line block ×4, first 2 shown]
                                        ; implicit-def: $vgpr16
	v_cmpx_gt_u32_e32 0x78, v0
	s_cbranch_execz .LBB0_40
; %bb.39:
	v_add_nc_u32_e32 v13, 64, v17
	ds_load_2addr_b32 v[70:71], v3 offset1:1
	ds_load_2addr_stride64_b64 v[9:12], v13 offset0:8 offset1:13
	ds_load_2addr_stride64_b64 v[5:8], v13 offset0:18 offset1:23
	;; [unrolled: 1-line block ×4, first 2 shown]
	ds_load_b64 v[113:114], v17 offset:24640
.LBB0_40:
	s_wait_alu 0xfffe
	s_or_b32 exec_lo, exec_lo, s7
	v_and_b32_e32 v54, 15, v119
	s_load_b64 s[0:1], s[0:1], 0x8
	v_add_nc_u32_e32 v72, s6, v53
	s_delay_alu instid0(VALU_DEP_2)
	v_or_b32_e32 v19, 16, v54
	v_mul_lo_u32 v18, v69, v54
	v_mul_u32_u24_e32 v17, 9, v54
	v_or_b32_e32 v20, 32, v54
	v_or_b32_e32 v21, 48, v54
	v_mul_lo_u32 v56, v69, v19
	s_delay_alu instid0(VALU_DEP_4) | instskip(NEXT) | instid1(VALU_DEP_4)
	v_lshlrev_b32_e32 v55, 3, v17
	v_mul_lo_u32 v57, v69, v20
	v_and_b32_e32 v59, 0xff, v18
	v_lshrrev_b32_e32 v60, 5, v18
	v_mul_lo_u32 v58, v69, v21
	s_clause 0x3
	global_load_b128 v[17:20], v55, s[10:11] offset:160
	global_load_b128 v[21:24], v55, s[10:11] offset:144
	;; [unrolled: 1-line block ×4, first 2 shown]
	v_and_b32_e32 v61, 0xff, v56
	v_lshrrev_b32_e32 v56, 5, v56
	global_load_b64 v[115:116], v55, s[10:11] offset:176
	v_lshlrev_b32_e32 v55, 3, v59
	v_and_b32_e32 v59, 0x7f8, v60
	v_lshlrev_b32_e32 v60, 3, v61
	v_and_b32_e32 v56, 0x7f8, v56
	v_and_b32_e32 v61, 0xff, v57
	s_wait_kmcnt 0x0
	s_clause 0x3
	global_load_b64 v[97:98], v55, s[0:1]
	global_load_b64 v[99:100], v59, s[0:1] offset:2048
	global_load_b64 v[89:90], v60, s[0:1]
	global_load_b64 v[91:92], v56, s[0:1] offset:2048
	v_lshrrev_b32_e32 v56, 5, v57
	v_and_b32_e32 v59, 0xff, v58
	v_lshrrev_b32_e32 v58, 5, v58
	v_or_b32_e32 v57, 64, v54
	v_lshlrev_b32_e32 v55, 3, v61
	v_or_b32_e32 v60, 0x50, v54
	v_and_b32_e32 v56, 0x7f8, v56
	v_lshlrev_b32_e32 v59, 3, v59
	v_and_b32_e32 v58, 0x7f8, v58
	v_mul_lo_u32 v57, v69, v57
	s_clause 0x3
	global_load_b64 v[93:94], v55, s[0:1]
	global_load_b64 v[95:96], v56, s[0:1] offset:2048
	global_load_b64 v[81:82], v59, s[0:1]
	global_load_b64 v[83:84], v58, s[0:1] offset:2048
	v_or_b32_e32 v56, 0x60, v54
	v_mul_lo_u32 v60, v69, v60
	v_or_b32_e32 v58, 0x70, v54
	v_or_b32_e32 v61, 0x80, v54
	v_or_b32_e32 v54, 0x90, v54
	v_mul_lo_u32 v56, v69, v56
	v_and_b32_e32 v55, 0xff, v57
	v_mul_lo_u32 v58, v69, v58
	v_lshrrev_b32_e32 v57, 5, v57
	v_and_b32_e32 v59, 0xff, v60
	v_mul_lo_u32 v61, v69, v61
	v_lshrrev_b32_e32 v60, 5, v60
	v_mul_lo_u32 v54, v69, v54
	v_lshlrev_b32_e32 v55, 3, v55
	v_and_b32_e32 v57, 0x7f8, v57
	v_and_b32_e32 v62, 0xff, v56
	v_lshlrev_b32_e32 v59, 3, v59
	v_lshrrev_b32_e32 v56, 5, v56
	v_and_b32_e32 v60, 0x7f8, v60
	v_and_b32_e32 v63, 0xff, v58
	v_lshrrev_b32_e32 v58, 5, v58
	s_clause 0x3
	global_load_b64 v[109:110], v55, s[0:1]
	global_load_b64 v[111:112], v57, s[0:1] offset:2048
	global_load_b64 v[101:102], v59, s[0:1]
	global_load_b64 v[105:106], v60, s[0:1] offset:2048
	v_and_b32_e32 v59, 0xff, v61
	v_lshlrev_b32_e32 v55, 3, v62
	v_lshrrev_b32_e32 v60, 5, v61
	v_and_b32_e32 v61, 0xff, v54
	v_lshrrev_b32_e32 v54, 5, v54
	v_and_b32_e32 v56, 0x7f8, v56
	v_lshlrev_b32_e32 v57, 3, v63
	v_and_b32_e32 v58, 0x7f8, v58
	v_lshlrev_b32_e32 v59, 3, v59
	v_and_b32_e32 v60, 0x7f8, v60
	v_lshlrev_b32_e32 v61, 3, v61
	v_and_b32_e32 v54, 0x7f8, v54
	s_clause 0x7
	global_load_b64 v[103:104], v55, s[0:1]
	global_load_b64 v[107:108], v56, s[0:1] offset:2048
	global_load_b64 v[85:86], v57, s[0:1]
	global_load_b64 v[87:88], v58, s[0:1] offset:2048
	;; [unrolled: 2-line block ×4, first 2 shown]
	s_and_saveexec_b32 s2, s3
	s_cbranch_execz .LBB0_42
; %bb.41:
	v_mul_u32_u24_e32 v53, 9, v121
	v_mul_lo_u32 v126, v69, v120
	v_mul_lo_u32 v127, v69, v121
	s_wait_loadcnt 0x1
	v_mad_co_u64_u32 v[166:167], null, s8, v121, v[72:73]
	v_lshlrev_b32_e32 v117, 3, v53
	v_or_b32_e32 v122, 0x90, v121
	v_or_b32_e32 v123, 0x80, v121
	v_dual_mov_b32 v167, 0 :: v_dual_and_b32 v128, 0xff, v126
	s_clause 0x4
	global_load_b128 v[53:56], v117, s[10:11] offset:112
	global_load_b128 v[57:60], v117, s[10:11] offset:128
	;; [unrolled: 1-line block ×4, first 2 shown]
	global_load_b64 v[117:118], v117, s[10:11] offset:176
	v_lshrrev_b32_e32 v126, 5, v126
	v_and_b32_e32 v129, 0xff, v127
	v_lshrrev_b32_e32 v127, 5, v127
	v_or_b32_e32 v124, 0x70, v121
	v_or_b32_e32 v125, 0x60, v121
	;; [unrolled: 1-line block ×6, first 2 shown]
	v_lshlrev_b32_e32 v128, 3, v128
	v_and_b32_e32 v130, 0x7f8, v126
	v_lshlrev_b64_e32 v[176:177], 3, v[166:167]
	v_and_b32_e32 v132, 0x7f8, v127
	v_mul_lo_u32 v134, v69, v122
	v_mul_lo_u32 v135, v69, v123
	;; [unrolled: 1-line block ×8, first 2 shown]
	v_mad_co_u64_u32 v[168:169], null, s8, v168, v[72:73]
	v_mad_co_u64_u32 v[170:171], null, s8, v170, v[72:73]
	;; [unrolled: 1-line block ×3, first 2 shown]
	v_mov_b32_e32 v173, v167
	v_mov_b32_e32 v169, v167
	v_mov_b32_e32 v171, v167
	v_and_b32_e32 v141, 0xff, v134
	v_lshrrev_b32_e32 v134, 5, v134
	v_and_b32_e32 v142, 0xff, v135
	v_lshrrev_b32_e32 v135, 5, v135
	;; [unrolled: 2-line block ×4, first 2 shown]
	v_and_b32_e32 v149, 0x7f8, v134
	v_and_b32_e32 v145, 0xff, v138
	v_lshrrev_b32_e32 v138, 5, v138
	v_and_b32_e32 v146, 0xff, v139
	v_lshrrev_b32_e32 v139, 5, v139
	;; [unrolled: 2-line block ×3, first 2 shown]
	v_and_b32_e32 v148, 0xff, v69
	v_mad_co_u64_u32 v[174:175], null, s8, v174, v[72:73]
	v_lshrrev_b32_e32 v69, 5, v69
	v_and_b32_e32 v150, 0x7f8, v135
	v_and_b32_e32 v151, 0x7f8, v136
	;; [unrolled: 1-line block ×3, first 2 shown]
	v_dual_mov_b32 v175, v167 :: v_dual_lshlrev_b32 v142, 3, v142
	v_and_b32_e32 v155, 0x7f8, v138
	v_and_b32_e32 v157, 0x7f8, v139
	v_lshlrev_b64_e32 v[168:169], 3, v[168:169]
	v_lshlrev_b64_e32 v[170:171], 3, v[170:171]
	;; [unrolled: 1-line block ×4, first 2 shown]
	s_wait_loadcnt_dscnt 0x404
	v_mul_f32_e32 v183, v54, v36
	s_wait_loadcnt_dscnt 0x302
	v_mul_f32_e32 v121, v60, v41
	;; [unrolled: 2-line block ×3, first 2 shown]
	v_dual_mul_f32 v64, v64, v50 :: v_dual_lshlrev_b32 v131, 3, v129
	s_clause 0x3
	global_load_b64 v[126:127], v128, s[0:1]
	global_load_b64 v[128:129], v130, s[0:1] offset:2048
	global_load_b64 v[130:131], v131, s[0:1]
	global_load_b64 v[132:133], v132, s[0:1] offset:2048
	s_wait_loadcnt 0x5
	v_mul_f32_e32 v178, v68, v45
	v_dual_mul_f32 v182, v62, v48 :: v_dual_lshlrev_b32 v141, 3, v141
	v_mul_f32_e32 v60, v60, v42
	v_dual_mul_f32 v68, v68, v46 :: v_dual_mul_f32 v179, v58, v40
	s_wait_loadcnt 0x4
	v_dual_mul_f32 v180, v66, v44 :: v_dual_mul_f32 v181, v52, v118
	v_mul_f32_e32 v66, v66, v43
	s_clause 0x1
	global_load_b64 v[134:135], v141, s[0:1]
	global_load_b64 v[136:137], v149, s[0:1] offset:2048
	v_dual_mul_f32 v118, v51, v118 :: v_dual_lshlrev_b32 v143, 3, v143
	v_dual_fmac_f32 v179, v57, v39 :: v_dual_lshlrev_b32 v152, 3, v144
	v_dual_fmac_f32 v183, v53, v35 :: v_dual_lshlrev_b32 v154, 3, v145
	;; [unrolled: 1-line block ×3, first 2 shown]
	v_lshlrev_b32_e32 v158, 3, v147
	v_and_b32_e32 v160, 0x7f8, v140
	v_lshlrev_b32_e32 v162, 3, v148
	v_dual_fmac_f32 v180, v65, v43 :: v_dual_and_b32 v69, 0x7f8, v69
	v_mul_f32_e32 v62, v62, v47
	v_mul_f32_e32 v58, v58, v39
	;; [unrolled: 1-line block ×3, first 2 shown]
	v_fma_f32 v42, v59, v42, -v121
	v_fma_f32 v46, v67, v46, -v178
	v_fmac_f32_e32 v60, v59, v41
	v_fmac_f32_e32 v68, v67, v45
	v_fma_f32 v50, v63, v50, -v166
	v_fmac_f32_e32 v182, v61, v47
	v_fma_f32 v39, v61, v48, -v62
	v_fma_f32 v35, v57, v40, -v58
	;; [unrolled: 1-line block ×4, first 2 shown]
	v_dual_sub_f32 v53, v179, v180 :: v_dual_sub_f32 v54, v181, v182
	s_delay_alu instid0(VALU_DEP_3)
	v_dual_add_f32 v57, v180, v182 :: v_dual_sub_f32 v58, v35, v40
	v_dual_sub_f32 v61, v40, v39 :: v_dual_add_f32 v184, v179, v181
	v_sub_f32_e32 v166, v180, v179
	v_sub_f32_e32 v178, v182, v181
	;; [unrolled: 1-line block ×3, first 2 shown]
	v_fma_f32 v57, -0.5, v57, v183
	s_wait_loadcnt 0x4
	v_mul_f32_e32 v41, v127, v129
	v_mul_f32_e32 v43, v126, v129
	s_wait_loadcnt 0x2
	v_mul_f32_e32 v45, v130, v133
	s_clause 0xd
	global_load_b64 v[138:139], v142, s[0:1]
	global_load_b64 v[140:141], v150, s[0:1] offset:2048
	global_load_b64 v[142:143], v143, s[0:1]
	global_load_b64 v[144:145], v151, s[0:1] offset:2048
	;; [unrolled: 2-line block ×7, first 2 shown]
	v_mul_f32_e32 v69, v56, v37
	v_mul_f32_e32 v56, v56, v38
	v_sub_f32_e32 v129, v46, v50
	v_fma_f32 v41, v126, v128, -v41
	v_fmac_f32_e32 v43, v127, v128
	v_fma_f32 v38, v55, v38, -v69
	v_fmac_f32_e32 v56, v55, v37
	v_fmac_f32_e32 v64, v63, v49
	v_fma_f32 v37, v65, v44, -v66
	s_delay_alu instid0(VALU_DEP_4) | instskip(SKIP_1) | instid1(VALU_DEP_4)
	v_dual_mul_f32 v44, v131, v133 :: v_dual_sub_f32 v47, v38, v42
	v_add_f32_e32 v49, v42, v46
	v_dual_add_f32 v133, v38, v50 :: v_dual_add_f32 v190, v56, v64
	s_delay_alu instid0(VALU_DEP_4)
	v_dual_sub_f32 v48, v50, v46 :: v_dual_sub_f32 v59, v35, v37
	v_sub_f32_e32 v51, v56, v64
	v_dual_sub_f32 v52, v60, v68 :: v_dual_sub_f32 v63, v179, v181
	v_sub_f32_e32 v55, v37, v39
	v_dual_add_f32 v62, v37, v39 :: v_dual_sub_f32 v65, v180, v182
	v_dual_sub_f32 v66, v56, v60 :: v_dual_sub_f32 v69, v42, v46
	v_dual_sub_f32 v67, v64, v68 :: v_dual_sub_f32 v118, v38, v50
	v_add_f32_e32 v117, v60, v68
	v_sub_f32_e32 v121, v42, v38
	v_dual_sub_f32 v185, v37, v35 :: v_dual_sub_f32 v188, v60, v56
	v_dual_add_f32 v187, v35, v40 :: v_dual_add_f32 v38, v34, v38
	s_wait_loadcnt 0xe
	v_dual_sub_f32 v189, v68, v64 :: v_dual_mul_f32 v126, v134, v137
	v_dual_add_f32 v35, v36, v35 :: v_dual_add_f32 v56, v33, v56
	v_add_f32_e32 v179, v183, v179
	v_mul_f32_e32 v191, v135, v137
	v_fma_f32 v44, v130, v132, -v44
	v_fma_f32 v49, -0.5, v49, v34
	v_fma_f32 v130, -0.5, v133, v34
	v_add_f32_e32 v34, v53, v54
	v_fma_f32 v117, -0.5, v117, v33
	v_fma_f32 v62, -0.5, v62, v36
	v_fma_f32 v36, -0.5, v187, v36
	v_add_f32_e32 v53, v121, v129
	v_add_co_u32 v176, s0, s4, v176
	s_delay_alu instid0(VALU_DEP_1)
	v_add_co_ci_u32_e64 v177, s0, s5, v177, s0
	v_add_co_u32 v168, s0, s4, v168
	s_wait_alu 0xf1ff
	v_add_co_ci_u32_e64 v169, s0, s5, v169, s0
	v_add_co_u32 v170, s0, s4, v170
	s_wait_alu 0xf1ff
	;; [unrolled: 3-line block ×3, first 2 shown]
	v_add_co_ci_u32_e64 v173, s0, s5, v173, s0
	v_add_f32_e32 v54, v166, v178
	v_dual_add_f32 v38, v38, v42 :: v_dual_add_f32 v35, v35, v37
	v_add_f32_e32 v37, v56, v60
	v_add_f32_e32 v42, v179, v180
	v_fma_f32 v56, v134, v136, -v191
	v_dual_fmac_f32 v126, v135, v136 :: v_dual_fmac_f32 v45, v132, v131
	v_fma_f32 v131, -0.5, v190, v33
	v_dual_add_f32 v33, v47, v48 :: v_dual_add_f32 v48, v66, v67
	v_add_f32_e32 v66, v188, v189
	v_add_f32_e32 v47, v59, v61
	v_fma_f32 v59, -0.5, v184, v183
	v_fmamk_f32 v134, v51, 0xbf737871, v49
	v_dual_add_f32 v38, v38, v46 :: v_dual_add_f32 v35, v35, v39
	v_fmamk_f32 v136, v63, 0xbf737871, v62
	v_fmac_f32_e32 v62, 0x3f737871, v63
	s_delay_alu instid0(VALU_DEP_4) | instskip(SKIP_3) | instid1(VALU_DEP_4)
	v_dual_fmac_f32 v134, 0xbf167918, v52 :: v_dual_add_f32 v39, v42, v182
	v_add_f32_e32 v61, v185, v186
	v_add_f32_e32 v38, v38, v50
	v_fmac_f32_e32 v136, 0xbf167918, v65
	v_fmac_f32_e32 v134, 0x3e9e377a, v33
	v_fmac_f32_e32 v62, 0x3f167918, v65
	s_wait_loadcnt 0xc
	v_mul_f32_e32 v127, v139, v141
	v_mul_f32_e32 v128, v138, v141
	s_wait_loadcnt 0xa
	v_mul_f32_e32 v137, v143, v145
	v_mul_f32_e32 v141, v142, v145
	;; [unrolled: 3-line block ×3, first 2 shown]
	s_wait_loadcnt 0x6
	v_mul_f32_e32 v192, v151, v153
	v_fma_f32 v60, v138, v140, -v127
	s_wait_loadcnt 0x4
	v_dual_mul_f32 v193, v155, v157 :: v_dual_fmamk_f32 v138, v52, 0x3f737871, v130
	v_mul_f32_e32 v157, v154, v157
	v_fma_f32 v67, v142, v144, -v137
	s_wait_loadcnt 0x0
	v_mul_f32_e32 v195, v163, v165
	v_dual_mul_f32 v165, v162, v165 :: v_dual_fmamk_f32 v142, v69, 0xbf737871, v131
	v_dual_mul_f32 v153, v150, v153 :: v_dual_fmac_f32 v128, v139, v140
	v_mul_f32_e32 v194, v159, v161
	v_mul_f32_e32 v161, v158, v161
	v_dual_fmac_f32 v149, v147, v148 :: v_dual_fmac_f32 v138, 0xbf167918, v51
	v_dual_fmac_f32 v157, v155, v156 :: v_dual_fmac_f32 v142, 0x3f167918, v118
	v_fmamk_f32 v140, v65, 0x3f737871, v36
	v_fmac_f32_e32 v130, 0xbf737871, v52
	v_dual_fmac_f32 v36, 0xbf737871, v65 :: v_dual_add_f32 v37, v37, v68
	v_fmac_f32_e32 v141, v143, v144
	s_delay_alu instid0(VALU_DEP_3) | instskip(SKIP_1) | instid1(VALU_DEP_4)
	v_dual_fmac_f32 v161, v159, v160 :: v_dual_fmac_f32 v130, 0x3f167918, v51
	v_dual_add_f32 v39, v39, v181 :: v_dual_fmac_f32 v142, 0x3e9e377a, v66
	v_dual_add_f32 v37, v37, v64 :: v_dual_fmac_f32 v138, 0x3e9e377a, v53
	v_fmamk_f32 v135, v58, 0x3f737871, v57
	v_dual_fmac_f32 v153, v151, v152 :: v_dual_fmac_f32 v140, 0xbf167918, v63
	v_dual_add_f32 v35, v35, v40 :: v_dual_fmac_f32 v136, 0x3e9e377a, v47
	v_fmac_f32_e32 v130, 0x3e9e377a, v53
	v_sub_f32_e32 v40, v37, v39
	v_fmac_f32_e32 v135, 0x3f167918, v55
	v_fmamk_f32 v137, v118, 0x3f737871, v117
	v_dual_fmac_f32 v140, 0x3e9e377a, v61 :: v_dual_add_f32 v37, v37, v39
	v_dual_fmac_f32 v165, v163, v164 :: v_dual_fmac_f32 v36, 0x3f167918, v63
	s_delay_alu instid0(VALU_DEP_4)
	v_fmac_f32_e32 v135, 0x3e9e377a, v34
	v_mul_f32_e32 v39, 0xbf4f1bbd, v136
	v_fmamk_f32 v139, v55, 0xbf737871, v59
	v_fmac_f32_e32 v57, 0xbf737871, v58
	v_fmac_f32_e32 v36, 0x3e9e377a, v61
	;; [unrolled: 1-line block ×5, first 2 shown]
	v_mul_f32_e32 v46, 0xbe9e377a, v140
	v_mul_f32_e32 v50, 0xbf737871, v36
	v_fmac_f32_e32 v117, 0xbf167918, v69
	v_fmac_f32_e32 v131, 0x3f737871, v69
	v_dual_fmac_f32 v137, 0x3e9e377a, v48 :: v_dual_fmac_f32 v62, 0x3e9e377a, v47
	v_fmac_f32_e32 v57, 0xbf167918, v55
	s_delay_alu instid0(VALU_DEP_4)
	v_fmac_f32_e32 v117, 0x3e9e377a, v48
	v_fmac_f32_e32 v139, 0x3f167918, v58
	v_fma_f32 v132, v158, v160, -v194
	v_mul_f32_e32 v42, 0xbf167918, v136
	v_fma_f32 v133, v162, v164, -v195
	v_fma_f32 v129, v154, v156, -v193
	v_fmac_f32_e32 v139, 0x3e9e377a, v54
	v_fma_f32 v127, v150, v152, -v192
	v_mul_f32_e32 v48, 0x3e9e377a, v36
	v_mul_f32_e32 v36, v40, v43
	v_fmac_f32_e32 v42, 0xbf4f1bbd, v135
	v_fmac_f32_e32 v46, 0x3f737871, v139
	;; [unrolled: 1-line block ×4, first 2 shown]
	v_fma_f32 v121, v146, v148, -v145
	v_add_f32_e32 v61, v137, v42
	s_delay_alu instid0(VALU_DEP_4) | instskip(SKIP_3) | instid1(VALU_DEP_4)
	v_fmac_f32_e32 v49, 0x3f167918, v52
	v_mul_f32_e32 v52, 0xbf167918, v62
	v_dual_fmac_f32 v57, 0x3e9e377a, v34 :: v_dual_sub_f32 v34, v38, v35
	v_dual_fmac_f32 v131, 0xbf167918, v118 :: v_dual_add_f32 v38, v38, v35
	v_fmac_f32_e32 v49, 0x3e9e377a, v33
	s_delay_alu instid0(VALU_DEP_3) | instskip(NEXT) | instid1(VALU_DEP_3)
	v_dual_mul_f32 v51, 0x3f4f1bbd, v62 :: v_dual_fmac_f32 v52, 0x3f4f1bbd, v57
	v_fmac_f32_e32 v131, 0x3e9e377a, v66
	v_mul_f32_e32 v33, v34, v43
	v_mul_f32_e32 v43, v37, v45
	;; [unrolled: 1-line block ×3, first 2 shown]
	v_fma_f32 v34, v34, v41, -v36
	v_mul_f32_e32 v65, v61, v153
	v_fmac_f32_e32 v33, v40, v41
	v_fma_f32 v36, v38, v44, -v43
	v_fmac_f32_e32 v35, v37, v44
	v_dual_sub_f32 v40, v137, v42 :: v_dual_mul_f32 v47, 0xbf737871, v140
	v_sub_f32_e32 v44, v138, v46
	v_add_f32_e32 v46, v138, v46
	global_store_b64 v[176:177], v[35:36], off
	v_dual_mul_f32 v36, v40, v126 :: v_dual_fmac_f32 v47, 0xbe9e377a, v139
	v_fmac_f32_e32 v59, 0xbf167918, v58
	v_mul_f32_e32 v37, v44, v128
	v_mul_f32_e32 v45, v46, v157
	s_delay_alu instid0(VALU_DEP_3) | instskip(NEXT) | instid1(VALU_DEP_1)
	v_dual_add_f32 v62, v142, v47 :: v_dual_fmac_f32 v59, 0x3e9e377a, v54
	v_mul_f32_e32 v66, v62, v157
	s_delay_alu instid0(VALU_DEP_2)
	v_fmac_f32_e32 v50, 0x3e9e377a, v59
	v_fmac_f32_e32 v48, 0x3f737871, v59
	v_sub_f32_e32 v53, v142, v47
	v_fmac_f32_e32 v45, v62, v129
	v_fma_f32 v46, v46, v129, -v66
	v_sub_f32_e32 v55, v131, v50
	v_add_f32_e32 v50, v131, v50
	v_sub_f32_e32 v58, v117, v52
	v_dual_add_f32 v52, v117, v52 :: v_dual_fmac_f32 v51, 0x3f167918, v57
	v_sub_f32_e32 v54, v130, v48
	v_add_f32_e32 v48, v130, v48
	s_delay_alu instid0(VALU_DEP_4)
	v_mul_f32_e32 v64, v58, v149
	v_sub_f32_e32 v38, v134, v39
	v_sub_f32_e32 v57, v49, v51
	v_add_f32_e32 v51, v49, v51
	v_add_f32_e32 v59, v134, v39
	v_mul_f32_e32 v47, v48, v161
	v_mul_f32_e32 v69, v52, v165
	;; [unrolled: 1-line block ×4, first 2 shown]
	v_dual_mul_f32 v35, v38, v126 :: v_dual_mul_f32 v42, v53, v128
	v_mul_f32_e32 v63, v55, v141
	v_mul_f32_e32 v43, v59, v153
	v_fmac_f32_e32 v47, v50, v132
	v_fma_f32 v50, v51, v133, -v69
	v_fmac_f32_e32 v49, v52, v133
	v_fmac_f32_e32 v37, v53, v60
	v_fma_f32 v48, v48, v132, -v68
	v_add_co_u32 v53, s0, s4, v174
	v_mad_co_u64_u32 v[51:52], null, s8, v120, v[72:73]
	v_mul_f32_e32 v39, v54, v141
	v_fma_f32 v36, v38, v56, -v36
	v_fmac_f32_e32 v35, v40, v56
	v_fma_f32 v38, v44, v60, -v42
	v_fma_f32 v40, v54, v67, -v63
	;; [unrolled: 1-line block ×3, first 2 shown]
	v_fmac_f32_e32 v43, v61, v127
	s_wait_alu 0xf1ff
	v_add_co_ci_u32_e64 v54, s0, s5, v175, s0
	v_mov_b32_e32 v52, v167
	s_clause 0x3
	global_store_b64 v[168:169], v[49:50], off
	global_store_b64 v[170:171], v[47:48], off
	;; [unrolled: 1-line block ×4, first 2 shown]
	v_mad_co_u64_u32 v[45:46], null, s8, v125, v[72:73]
	v_mad_co_u64_u32 v[47:48], null, s8, v124, v[72:73]
	v_mov_b32_e32 v46, v167
	v_lshlrev_b64_e32 v[43:44], 3, v[51:52]
	v_mov_b32_e32 v48, v167
	v_mad_co_u64_u32 v[49:50], null, s8, v123, v[72:73]
	s_delay_alu instid0(VALU_DEP_4)
	v_lshlrev_b64_e32 v[45:46], 3, v[45:46]
	v_mov_b32_e32 v50, v167
	v_mad_co_u64_u32 v[51:52], null, s8, v122, v[72:73]
	v_mov_b32_e32 v52, v167
	v_add_co_u32 v43, s0, s4, v43
	v_lshlrev_b64_e32 v[47:48], 3, v[47:48]
	s_wait_alu 0xf1ff
	v_add_co_ci_u32_e64 v44, s0, s5, v44, s0
	v_add_co_u32 v45, s0, s4, v45
	v_lshlrev_b64_e32 v[49:50], 3, v[49:50]
	s_wait_alu 0xf1ff
	v_add_co_ci_u32_e64 v46, s0, s5, v46, s0
	v_mul_f32_e32 v41, v57, v149
	v_add_co_u32 v47, s0, s4, v47
	v_lshlrev_b64_e32 v[51:52], 3, v[51:52]
	s_wait_alu 0xf1ff
	v_add_co_ci_u32_e64 v48, s0, s5, v48, s0
	v_add_co_u32 v49, s0, s4, v49
	v_fma_f32 v42, v57, v121, -v64
	v_fmac_f32_e32 v41, v58, v121
	s_wait_alu 0xf1ff
	v_add_co_ci_u32_e64 v50, s0, s5, v50, s0
	v_fmac_f32_e32 v39, v55, v67
	v_add_co_u32 v51, s0, s4, v51
	s_wait_alu 0xf1ff
	v_add_co_ci_u32_e64 v52, s0, s5, v52, s0
	s_clause 0x4
	global_store_b64 v[43:44], v[33:34], off
	global_store_b64 v[45:46], v[41:42], off
	;; [unrolled: 1-line block ×5, first 2 shown]
.LBB0_42:
	s_wait_alu 0xfffe
	s_or_b32 exec_lo, exec_lo, s2
	v_cmp_gt_u32_e64 s1, 0x78, v0
	v_cmp_lt_u32_e64 s0, 0x77, v0
	s_wait_dscnt 0x4
	v_cndmask_b32_e64 v33, 0, 1, vcc_lo
	s_wait_alu 0xf1ff
	v_cndmask_b32_e64 v0, 0, 1, s1
	s_or_b32 vcc_lo, s0, s9
	s_mov_b32 s0, exec_lo
	s_wait_alu 0xfffe
	s_delay_alu instid0(VALU_DEP_1) | instskip(NEXT) | instid1(VALU_DEP_1)
	v_cndmask_b32_e32 v0, v33, v0, vcc_lo
	v_and_b32_e32 v0, 1, v0
	s_delay_alu instid0(VALU_DEP_1)
	v_cmpx_eq_u32_e32 1, v0
	s_cbranch_execz .LBB0_44
; %bb.43:
	s_wait_loadcnt 0x15
	v_dual_mul_f32 v0, v10, v30 :: v_dual_mul_f32 v33, v12, v32
	v_mul_f32_e32 v30, v9, v30
	v_mul_f32_e32 v32, v11, v32
	s_delay_alu instid0(VALU_DEP_3) | instskip(NEXT) | instid1(VALU_DEP_3)
	v_dual_fmac_f32 v0, v9, v29 :: v_dual_fmac_f32 v33, v11, v31
	v_fma_f32 v9, v10, v29, -v30
	s_wait_dscnt 0x3
	v_mul_f32_e32 v10, v6, v26
	v_mul_f32_e32 v11, v5, v26
	v_fma_f32 v12, v12, v31, -v32
	s_delay_alu instid0(VALU_DEP_3) | instskip(NEXT) | instid1(VALU_DEP_3)
	v_fmac_f32_e32 v10, v5, v25
	v_fma_f32 v5, v6, v25, -v11
	s_wait_dscnt 0x2
	v_dual_mul_f32 v6, v2, v22 :: v_dual_mul_f32 v11, v4, v24
	v_mul_f32_e32 v26, v8, v28
	v_mul_f32_e32 v28, v7, v28
	s_delay_alu instid0(VALU_DEP_3) | instskip(NEXT) | instid1(VALU_DEP_4)
	v_dual_add_f32 v25, v71, v12 :: v_dual_fmac_f32 v6, v1, v21
	v_fmac_f32_e32 v11, v3, v23
	s_delay_alu instid0(VALU_DEP_4) | instskip(NEXT) | instid1(VALU_DEP_4)
	v_fmac_f32_e32 v26, v7, v27
	v_fma_f32 v7, v8, v27, -v28
	v_dual_mul_f32 v8, v1, v22 :: v_dual_mul_f32 v1, v3, v24
	s_wait_dscnt 0x1
	v_mul_f32_e32 v3, v15, v20
	s_delay_alu instid0(VALU_DEP_2) | instskip(SKIP_2) | instid1(VALU_DEP_4)
	v_fma_f32 v1, v4, v23, -v1
	v_mul_f32_e32 v22, v14, v18
	v_mul_f32_e32 v4, v13, v18
	v_fma_f32 v3, v16, v19, -v3
	s_wait_loadcnt_dscnt 0x1400
	v_mul_f32_e32 v23, v113, v116
	v_add_f32_e32 v27, v7, v1
	v_dual_fmac_f32 v22, v13, v17 :: v_dual_mul_f32 v13, v16, v20
	v_fma_f32 v4, v14, v17, -v4
	v_sub_f32_e32 v17, v7, v1
	s_delay_alu instid0(VALU_DEP_3) | instskip(SKIP_1) | instid1(VALU_DEP_2)
	v_dual_add_f32 v18, v70, v33 :: v_dual_fmac_f32 v13, v15, v19
	v_fma_f32 v2, v2, v21, -v8
	v_dual_mul_f32 v16, v114, v116 :: v_dual_sub_f32 v19, v13, v11
	v_dual_add_f32 v21, v33, v13 :: v_dual_add_f32 v8, v26, v11
	v_sub_f32_e32 v20, v12, v3
	v_sub_f32_e32 v24, v11, v13
	s_delay_alu instid0(VALU_DEP_4) | instskip(NEXT) | instid1(VALU_DEP_4)
	v_fmac_f32_e32 v16, v113, v115
	v_fma_f32 v8, -0.5, v8, v70
	v_fmac_f32_e32 v70, -0.5, v21
	s_delay_alu instid0(VALU_DEP_1) | instskip(SKIP_2) | instid1(VALU_DEP_2)
	v_dual_fmamk_f32 v21, v17, 0x3f737871, v70 :: v_dual_add_f32 v14, v18, v26
	v_sub_f32_e32 v18, v33, v26
	v_fmac_f32_e32 v70, 0xbf737871, v17
	v_add_f32_e32 v18, v18, v19
	v_fma_f32 v19, v114, v115, -v23
	v_sub_f32_e32 v23, v26, v33
	v_fmamk_f32 v15, v20, 0xbf737871, v8
	v_fmac_f32_e32 v8, 0x3f737871, v20
	v_dual_fmac_f32 v21, 0xbf167918, v20 :: v_dual_add_f32 v14, v14, v11
	v_fmac_f32_e32 v70, 0x3f167918, v20
	s_delay_alu instid0(VALU_DEP_4)
	v_fmac_f32_e32 v15, 0xbf167918, v17
	v_sub_f32_e32 v11, v26, v11
	v_add_f32_e32 v20, v12, v3
	v_dual_fmac_f32 v8, 0x3f167918, v17 :: v_dual_add_f32 v17, v25, v7
	v_sub_f32_e32 v25, v12, v7
	v_dual_add_f32 v23, v23, v24 :: v_dual_add_f32 v14, v14, v13
	v_fma_f32 v24, -0.5, v27, v71
	v_sub_f32_e32 v13, v33, v13
	v_add_f32_e32 v17, v17, v1
	s_delay_alu instid0(VALU_DEP_4)
	v_fmac_f32_e32 v21, 0x3e9e377a, v23
	v_fmac_f32_e32 v71, -0.5, v20
	v_fmac_f32_e32 v15, 0x3e9e377a, v18
	v_dual_fmac_f32 v8, 0x3e9e377a, v18 :: v_dual_sub_f32 v7, v7, v12
	v_fmamk_f32 v18, v13, 0x3f737871, v24
	v_dual_sub_f32 v26, v3, v1 :: v_dual_add_f32 v17, v17, v3
	v_sub_f32_e32 v1, v1, v3
	v_fmac_f32_e32 v70, 0x3e9e377a, v23
	v_fmamk_f32 v23, v11, 0xbf737871, v71
	v_dual_add_f32 v3, v0, v10 :: v_dual_fmac_f32 v24, 0xbf737871, v13
	s_delay_alu instid0(VALU_DEP_4) | instskip(NEXT) | instid1(VALU_DEP_3)
	v_dual_fmac_f32 v18, 0x3f167918, v11 :: v_dual_add_f32 v1, v7, v1
	v_fmac_f32_e32 v23, 0x3f167918, v13
	v_dual_fmac_f32 v71, 0x3f737871, v11 :: v_dual_add_f32 v20, v25, v26
	s_delay_alu instid0(VALU_DEP_4) | instskip(SKIP_1) | instid1(VALU_DEP_3)
	v_dual_add_f32 v3, v3, v6 :: v_dual_fmac_f32 v24, 0xbf167918, v11
	v_add_f32_e32 v7, v6, v22
	v_fmac_f32_e32 v71, 0xbf167918, v13
	s_delay_alu instid0(VALU_DEP_4) | instskip(NEXT) | instid1(VALU_DEP_4)
	v_dual_fmac_f32 v23, 0x3e9e377a, v1 :: v_dual_fmac_f32 v18, 0x3e9e377a, v20
	v_dual_fmac_f32 v24, 0x3e9e377a, v20 :: v_dual_add_f32 v3, v3, v22
	v_dual_add_f32 v11, v10, v16 :: v_dual_sub_f32 v12, v5, v19
	v_fma_f32 v7, -0.5, v7, v0
	v_fmac_f32_e32 v71, 0x3e9e377a, v1
	s_delay_alu instid0(VALU_DEP_4) | instskip(NEXT) | instid1(VALU_DEP_4)
	v_dual_add_f32 v1, v3, v16 :: v_dual_sub_f32 v20, v16, v22
	v_dual_sub_f32 v3, v2, v4 :: v_dual_fmac_f32 v0, -0.5, v11
	s_delay_alu instid0(VALU_DEP_4) | instskip(SKIP_2) | instid1(VALU_DEP_4)
	v_dual_fmamk_f32 v11, v12, 0xbf737871, v7 :: v_dual_sub_f32 v26, v6, v10
	v_sub_f32_e32 v13, v10, v6
	v_sub_f32_e32 v27, v22, v16
	v_dual_fmamk_f32 v25, v3, 0x3f737871, v0 :: v_dual_sub_f32 v10, v10, v16
	v_fmac_f32_e32 v0, 0xbf737871, v3
	v_dual_sub_f32 v16, v5, v2 :: v_dual_fmac_f32 v7, 0x3f737871, v12
	v_add_f32_e32 v13, v13, v20
	s_delay_alu instid0(VALU_DEP_4)
	v_dual_fmac_f32 v25, 0xbf167918, v12 :: v_dual_add_f32 v20, v26, v27
	v_sub_f32_e32 v26, v4, v19
	v_fmac_f32_e32 v0, 0x3f167918, v12
	v_add_f32_e32 v12, v5, v19
	v_dual_fmac_f32 v11, 0xbf167918, v3 :: v_dual_sub_f32 v6, v6, v22
	v_fmac_f32_e32 v7, 0x3f167918, v3
	v_add_f32_e32 v3, v2, v4
	v_fmac_f32_e32 v25, 0x3e9e377a, v20
	s_delay_alu instid0(VALU_DEP_4) | instskip(SKIP_1) | instid1(VALU_DEP_4)
	v_dual_fmac_f32 v11, 0x3e9e377a, v13 :: v_dual_fmac_f32 v0, 0x3e9e377a, v20
	v_sub_f32_e32 v20, v19, v4
	v_fma_f32 v3, -0.5, v3, v9
	v_fmac_f32_e32 v7, 0x3e9e377a, v13
	v_add_f32_e32 v13, v9, v5
	v_fmac_f32_e32 v9, -0.5, v12
	v_add_f32_e32 v16, v16, v20
	v_fmamk_f32 v12, v10, 0x3f737871, v3
	s_delay_alu instid0(VALU_DEP_1) | instskip(SKIP_2) | instid1(VALU_DEP_3)
	v_dual_fmac_f32 v12, 0x3f167918, v6 :: v_dual_sub_f32 v5, v2, v5
	v_dual_add_f32 v2, v13, v2 :: v_dual_add_f32 v13, v14, v1
	v_sub_f32_e32 v14, v14, v1
	v_fmac_f32_e32 v12, 0x3e9e377a, v16
	s_delay_alu instid0(VALU_DEP_4) | instskip(NEXT) | instid1(VALU_DEP_4)
	v_dual_fmamk_f32 v22, v6, 0xbf737871, v9 :: v_dual_add_f32 v5, v5, v26
	v_add_f32_e32 v2, v2, v4
	s_delay_alu instid0(VALU_DEP_3) | instskip(NEXT) | instid1(VALU_DEP_3)
	v_mul_f32_e32 v4, 0xbf167918, v12
	v_fmac_f32_e32 v22, 0x3f167918, v10
	s_delay_alu instid0(VALU_DEP_3) | instskip(NEXT) | instid1(VALU_DEP_3)
	v_dual_fmac_f32 v9, 0x3f737871, v6 :: v_dual_add_f32 v2, v2, v19
	v_fmac_f32_e32 v4, 0x3f4f1bbd, v11
	s_delay_alu instid0(VALU_DEP_2) | instskip(NEXT) | instid1(VALU_DEP_1)
	v_fmac_f32_e32 v9, 0xbf167918, v10
	v_fmac_f32_e32 v9, 0x3e9e377a, v5
	;; [unrolled: 1-line block ×3, first 2 shown]
	s_delay_alu instid0(VALU_DEP_1) | instskip(SKIP_1) | instid1(VALU_DEP_4)
	v_fmac_f32_e32 v3, 0xbf167918, v6
	v_fmac_f32_e32 v22, 0x3e9e377a, v5
	v_mul_f32_e32 v6, 0xbf737871, v9
	v_mul_f32_e32 v9, 0xbe9e377a, v9
	s_delay_alu instid0(VALU_DEP_4) | instskip(SKIP_1) | instid1(VALU_DEP_4)
	v_fmac_f32_e32 v3, 0x3e9e377a, v16
	v_add_f32_e32 v16, v15, v4
	v_fmac_f32_e32 v6, 0xbe9e377a, v0
	s_delay_alu instid0(VALU_DEP_4) | instskip(NEXT) | instid1(VALU_DEP_4)
	v_fmac_f32_e32 v9, 0x3f737871, v0
	v_dual_sub_f32 v15, v15, v4 :: v_dual_mul_f32 v10, 0xbf167918, v3
	s_delay_alu instid0(VALU_DEP_3) | instskip(SKIP_1) | instid1(VALU_DEP_3)
	v_dual_mul_f32 v3, 0xbf4f1bbd, v3 :: v_dual_add_f32 v20, v70, v6
	s_wait_loadcnt 0x12
	v_dual_add_f32 v27, v71, v9 :: v_dual_mul_f32 v0, v98, v100
	s_delay_alu instid0(VALU_DEP_2) | instskip(SKIP_2) | instid1(VALU_DEP_2)
	v_fmac_f32_e32 v3, 0x3f167918, v7
	v_mul_f32_e32 v5, 0xbf737871, v22
	v_mul_f32_e32 v22, 0x3e9e377a, v22
	v_dual_add_f32 v28, v24, v3 :: v_dual_fmac_f32 v5, 0x3e9e377a, v25
	s_delay_alu instid0(VALU_DEP_1) | instskip(NEXT) | instid1(VALU_DEP_3)
	v_add_f32_e32 v19, v21, v5
	v_dual_fmac_f32 v22, 0x3f737871, v25 :: v_dual_sub_f32 v29, v70, v6
	v_mul_f32_e32 v12, 0x3f4f1bbd, v12
	v_mul_f32_e32 v1, v97, v100
	v_sub_f32_e32 v21, v21, v5
	s_delay_alu instid0(VALU_DEP_4)
	v_add_f32_e32 v25, v23, v22
	v_sub_f32_e32 v22, v23, v22
	v_fmac_f32_e32 v12, 0x3f167918, v11
	v_fmac_f32_e32 v10, 0xbf4f1bbd, v7
	s_wait_loadcnt 0x10
	v_dual_mul_f32 v4, v89, v92 :: v_dual_fmac_f32 v1, v98, v99
	v_add_f32_e32 v7, v17, v2
	s_delay_alu instid0(VALU_DEP_3) | instskip(SKIP_1) | instid1(VALU_DEP_4)
	v_dual_add_f32 v11, v18, v12 :: v_dual_sub_f32 v30, v8, v10
	v_dual_sub_f32 v17, v17, v2 :: v_dual_mul_f32 v2, v90, v92
	v_dual_sub_f32 v23, v71, v9 :: v_dual_fmac_f32 v4, v90, v91
	v_sub_f32_e32 v18, v18, v12
	v_fma_f32 v5, v97, v99, -v0
	v_dual_mul_f32 v0, v7, v1 :: v_dual_sub_f32 v31, v24, v3
	v_mul_f32_e32 v1, v13, v1
	v_fma_f32 v3, v89, v91, -v2
	v_mul_f32_e32 v2, v11, v4
	v_add_f32_e32 v26, v8, v10
	v_fmac_f32_e32 v0, v13, v5
	v_fma_f32 v1, v7, v5, -v1
	s_wait_loadcnt 0xe
	v_dual_mul_f32 v5, v94, v96 :: v_dual_fmac_f32 v2, v16, v3
	s_wait_loadcnt 0xc
	v_mul_f32_e32 v7, v81, v84
	v_mul_f32_e32 v6, v93, v96
	;; [unrolled: 1-line block ×3, first 2 shown]
	v_fma_f32 v5, v93, v95, -v5
	s_wait_loadcnt 0x8
	v_mul_f32_e32 v12, v102, v106
	v_fmac_f32_e32 v7, v82, v83
	v_fmac_f32_e32 v6, v94, v95
	v_mul_f32_e32 v9, v82, v84
	v_fma_f32 v3, v11, v3, -v8
	v_mul_f32_e32 v11, v101, v106
	s_delay_alu instid0(VALU_DEP_3) | instskip(SKIP_4) | instid1(VALU_DEP_3)
	v_fma_f32 v8, v81, v83, -v9
	v_mul_f32_e32 v9, v109, v112
	v_mul_f32_e32 v4, v25, v6
	;; [unrolled: 1-line block ×3, first 2 shown]
	v_dual_mul_f32 v6, v27, v7 :: v_dual_fmac_f32 v11, v102, v105
	v_dual_mul_f32 v7, v20, v7 :: v_dual_fmac_f32 v4, v19, v5
	v_fmac_f32_e32 v9, v110, v111
	s_delay_alu instid0(VALU_DEP_4)
	v_fma_f32 v5, v25, v5, -v10
	s_wait_loadcnt 0x6
	v_mul_f32_e32 v19, v103, v108
	v_mul_f32_e32 v10, v110, v112
	v_fmac_f32_e32 v6, v20, v8
	v_fma_f32 v7, v27, v8, -v7
	v_mul_f32_e32 v8, v28, v9
	v_fma_f32 v16, v101, v105, -v12
	v_fmac_f32_e32 v19, v104, v107
	v_fma_f32 v13, v109, v111, -v10
	v_mul_f32_e32 v10, v17, v11
	v_mul_f32_e32 v11, v14, v11
	s_wait_loadcnt 0x4
	v_dual_mul_f32 v9, v26, v9 :: v_dual_mul_f32 v20, v85, v88
	v_fmac_f32_e32 v8, v26, v13
	s_delay_alu instid0(VALU_DEP_3)
	v_fma_f32 v11, v17, v16, -v11
	s_wait_loadcnt 0x2
	v_mul_f32_e32 v17, v77, v80
	v_mul_f32_e32 v12, v104, v108
	v_fma_f32 v9, v28, v13, -v9
	v_fmac_f32_e32 v20, v86, v87
	s_delay_alu instid0(VALU_DEP_4)
	v_fmac_f32_e32 v17, v78, v79
	v_fmac_f32_e32 v10, v14, v16
	v_fma_f32 v13, v103, v107, -v12
	v_mul_f32_e32 v12, v18, v19
	v_dual_mul_f32 v14, v15, v19 :: v_dual_mul_f32 v19, v86, v88
	v_mul_f32_e32 v16, v21, v20
	s_delay_alu instid0(VALU_DEP_3) | instskip(NEXT) | instid1(VALU_DEP_3)
	v_fmac_f32_e32 v12, v15, v13
	v_fma_f32 v13, v18, v13, -v14
	s_delay_alu instid0(VALU_DEP_4) | instskip(SKIP_3) | instid1(VALU_DEP_3)
	v_fma_f32 v15, v85, v87, -v19
	v_lshrrev_b32_e32 v19, 4, v119
	v_mul_f32_e32 v18, v78, v80
	v_mul_f32_e32 v14, v22, v20
	v_mad_u32_u24 v28, 0x90, v19, v119
	s_delay_alu instid0(VALU_DEP_3) | instskip(SKIP_1) | instid1(VALU_DEP_2)
	v_fma_f32 v20, v77, v79, -v18
	s_wait_loadcnt 0x1
	v_mad_co_u64_u32 v[18:19], null, s8, v28, v[72:73]
	v_dual_mov_b32 v19, 0 :: v_dual_fmac_f32 v14, v21, v15
	v_fma_f32 v15, v22, v15, -v16
	v_mul_f32_e32 v16, v23, v17
	v_mul_f32_e32 v17, v29, v17
	s_wait_loadcnt 0x0
	v_mul_f32_e32 v24, v73, v76
	v_mul_f32_e32 v21, v74, v76
	v_add_nc_u32_e32 v25, 16, v28
	v_fmac_f32_e32 v16, v29, v20
	v_fma_f32 v17, v23, v20, -v17
	v_fmac_f32_e32 v24, v74, v75
	v_fma_f32 v23, v73, v75, -v21
	v_lshlrev_b64_e32 v[20:21], 3, v[18:19]
	s_delay_alu instid0(VALU_DEP_3) | instskip(SKIP_2) | instid1(VALU_DEP_4)
	v_mul_f32_e32 v22, v31, v24
	v_mul_f32_e32 v18, v30, v24
	v_mad_co_u64_u32 v[24:25], null, s8, v25, v[72:73]
	v_add_co_u32 v20, vcc_lo, s4, v20
	s_wait_alu 0xfffd
	v_add_co_ci_u32_e32 v21, vcc_lo, s5, v21, vcc_lo
	v_dual_mov_b32 v25, v19 :: v_dual_fmac_f32 v22, v30, v23
	v_fma_f32 v23, v31, v23, -v18
	v_add_nc_u32_e32 v18, 32, v28
	global_store_b64 v[20:21], v[0:1], off
	v_lshlrev_b64_e32 v[0:1], 3, v[24:25]
	v_add_nc_u32_e32 v24, 48, v28
	v_mad_co_u64_u32 v[20:21], null, s8, v18, v[72:73]
	v_mov_b32_e32 v21, v19
	s_delay_alu instid0(VALU_DEP_3)
	v_mad_co_u64_u32 v[24:25], null, s8, v24, v[72:73]
	v_add_co_u32 v0, vcc_lo, s4, v0
	v_add_nc_u32_e32 v18, 64, v28
	s_wait_alu 0xfffd
	v_add_co_ci_u32_e32 v1, vcc_lo, s5, v1, vcc_lo
	v_mov_b32_e32 v25, v19
	v_lshlrev_b64_e32 v[20:21], 3, v[20:21]
	v_mad_co_u64_u32 v[26:27], null, s8, v18, v[72:73]
	global_store_b64 v[0:1], v[2:3], off
	v_lshlrev_b64_e32 v[0:1], 3, v[24:25]
	v_mov_b32_e32 v27, v19
	v_add_co_u32 v2, vcc_lo, s4, v20
	s_wait_alu 0xfffd
	v_add_co_ci_u32_e32 v3, vcc_lo, s5, v21, vcc_lo
	s_delay_alu instid0(VALU_DEP_4)
	v_add_co_u32 v0, vcc_lo, s4, v0
	v_lshlrev_b64_e32 v[20:21], 3, v[26:27]
	s_wait_alu 0xfffd
	v_add_co_ci_u32_e32 v1, vcc_lo, s5, v1, vcc_lo
	v_add_nc_u32_e32 v18, 0x50, v28
	s_clause 0x1
	global_store_b64 v[2:3], v[4:5], off
	global_store_b64 v[0:1], v[6:7], off
	v_add_nc_u32_e32 v2, 0x60, v28
	v_add_co_u32 v20, vcc_lo, s4, v20
	v_mad_co_u64_u32 v[24:25], null, s8, v18, v[72:73]
	v_add_nc_u32_e32 v4, 0x70, v28
	s_wait_alu 0xfffd
	v_add_co_ci_u32_e32 v21, vcc_lo, s5, v21, vcc_lo
	v_mov_b32_e32 v25, v19
	v_mad_co_u64_u32 v[2:3], null, s8, v2, v[72:73]
	v_dual_mov_b32 v3, v19 :: v_dual_add_nc_u32 v6, 0x80, v28
	v_mad_co_u64_u32 v[4:5], null, s8, v4, v[72:73]
	global_store_b64 v[20:21], v[8:9], off
	v_add_nc_u32_e32 v8, 0x90, v28
	v_lshlrev_b64_e32 v[0:1], 3, v[24:25]
	v_mov_b32_e32 v5, v19
	v_mad_co_u64_u32 v[6:7], null, s8, v6, v[72:73]
	v_lshlrev_b64_e32 v[2:3], 3, v[2:3]
	v_mov_b32_e32 v7, v19
	v_mad_co_u64_u32 v[8:9], null, s8, v8, v[72:73]
	v_mov_b32_e32 v9, v19
	v_add_co_u32 v0, vcc_lo, s4, v0
	v_lshlrev_b64_e32 v[4:5], 3, v[4:5]
	s_wait_alu 0xfffd
	v_add_co_ci_u32_e32 v1, vcc_lo, s5, v1, vcc_lo
	v_add_co_u32 v2, vcc_lo, s4, v2
	v_lshlrev_b64_e32 v[6:7], 3, v[6:7]
	s_wait_alu 0xfffd
	v_add_co_ci_u32_e32 v3, vcc_lo, s5, v3, vcc_lo
	;; [unrolled: 4-line block ×3, first 2 shown]
	v_add_co_u32 v6, vcc_lo, s4, v6
	s_wait_alu 0xfffd
	v_add_co_ci_u32_e32 v7, vcc_lo, s5, v7, vcc_lo
	v_add_co_u32 v8, vcc_lo, s4, v8
	s_wait_alu 0xfffd
	v_add_co_ci_u32_e32 v9, vcc_lo, s5, v9, vcc_lo
	s_clause 0x4
	global_store_b64 v[0:1], v[10:11], off
	global_store_b64 v[2:3], v[12:13], off
	;; [unrolled: 1-line block ×5, first 2 shown]
.LBB0_44:
	s_nop 0
	s_sendmsg sendmsg(MSG_DEALLOC_VGPRS)
	s_endpgm
	.section	.rodata,"a",@progbits
	.p2align	6, 0x0
	.amdhsa_kernel fft_rtc_back_len160_factors_2_8_10_wgs_200_tpt_10_dim3_sp_ip_CI_sbcc_twdbase8_2step_dirReg_intrinsicReadWrite
		.amdhsa_group_segment_fixed_size 0
		.amdhsa_private_segment_fixed_size 0
		.amdhsa_kernarg_size 88
		.amdhsa_user_sgpr_count 2
		.amdhsa_user_sgpr_dispatch_ptr 0
		.amdhsa_user_sgpr_queue_ptr 0
		.amdhsa_user_sgpr_kernarg_segment_ptr 1
		.amdhsa_user_sgpr_dispatch_id 0
		.amdhsa_user_sgpr_private_segment_size 0
		.amdhsa_wavefront_size32 1
		.amdhsa_uses_dynamic_stack 0
		.amdhsa_enable_private_segment 0
		.amdhsa_system_sgpr_workgroup_id_x 1
		.amdhsa_system_sgpr_workgroup_id_y 0
		.amdhsa_system_sgpr_workgroup_id_z 0
		.amdhsa_system_sgpr_workgroup_info 0
		.amdhsa_system_vgpr_workitem_id 0
		.amdhsa_next_free_vgpr 196
		.amdhsa_next_free_sgpr 26
		.amdhsa_reserve_vcc 1
		.amdhsa_float_round_mode_32 0
		.amdhsa_float_round_mode_16_64 0
		.amdhsa_float_denorm_mode_32 3
		.amdhsa_float_denorm_mode_16_64 3
		.amdhsa_fp16_overflow 0
		.amdhsa_workgroup_processor_mode 1
		.amdhsa_memory_ordered 1
		.amdhsa_forward_progress 0
		.amdhsa_round_robin_scheduling 0
		.amdhsa_exception_fp_ieee_invalid_op 0
		.amdhsa_exception_fp_denorm_src 0
		.amdhsa_exception_fp_ieee_div_zero 0
		.amdhsa_exception_fp_ieee_overflow 0
		.amdhsa_exception_fp_ieee_underflow 0
		.amdhsa_exception_fp_ieee_inexact 0
		.amdhsa_exception_int_div_zero 0
	.end_amdhsa_kernel
	.text
.Lfunc_end0:
	.size	fft_rtc_back_len160_factors_2_8_10_wgs_200_tpt_10_dim3_sp_ip_CI_sbcc_twdbase8_2step_dirReg_intrinsicReadWrite, .Lfunc_end0-fft_rtc_back_len160_factors_2_8_10_wgs_200_tpt_10_dim3_sp_ip_CI_sbcc_twdbase8_2step_dirReg_intrinsicReadWrite
                                        ; -- End function
	.section	.AMDGPU.csdata,"",@progbits
; Kernel info:
; codeLenInByte = 10372
; NumSgprs: 28
; NumVgprs: 196
; ScratchSize: 0
; MemoryBound: 0
; FloatMode: 240
; IeeeMode: 1
; LDSByteSize: 0 bytes/workgroup (compile time only)
; SGPRBlocks: 3
; VGPRBlocks: 24
; NumSGPRsForWavesPerEU: 28
; NumVGPRsForWavesPerEU: 196
; Occupancy: 7
; WaveLimiterHint : 1
; COMPUTE_PGM_RSRC2:SCRATCH_EN: 0
; COMPUTE_PGM_RSRC2:USER_SGPR: 2
; COMPUTE_PGM_RSRC2:TRAP_HANDLER: 0
; COMPUTE_PGM_RSRC2:TGID_X_EN: 1
; COMPUTE_PGM_RSRC2:TGID_Y_EN: 0
; COMPUTE_PGM_RSRC2:TGID_Z_EN: 0
; COMPUTE_PGM_RSRC2:TIDIG_COMP_CNT: 0
	.text
	.p2alignl 7, 3214868480
	.fill 96, 4, 3214868480
	.type	__hip_cuid_f049045f832b731c,@object ; @__hip_cuid_f049045f832b731c
	.section	.bss,"aw",@nobits
	.globl	__hip_cuid_f049045f832b731c
__hip_cuid_f049045f832b731c:
	.byte	0                               ; 0x0
	.size	__hip_cuid_f049045f832b731c, 1

	.ident	"AMD clang version 19.0.0git (https://github.com/RadeonOpenCompute/llvm-project roc-6.4.0 25133 c7fe45cf4b819c5991fe208aaa96edf142730f1d)"
	.section	".note.GNU-stack","",@progbits
	.addrsig
	.addrsig_sym __hip_cuid_f049045f832b731c
	.amdgpu_metadata
---
amdhsa.kernels:
  - .args:
      - .actual_access:  read_only
        .address_space:  global
        .offset:         0
        .size:           8
        .value_kind:     global_buffer
      - .address_space:  global
        .offset:         8
        .size:           8
        .value_kind:     global_buffer
      - .actual_access:  read_only
        .address_space:  global
        .offset:         16
        .size:           8
        .value_kind:     global_buffer
      - .actual_access:  read_only
        .address_space:  global
        .offset:         24
        .size:           8
        .value_kind:     global_buffer
      - .offset:         32
        .size:           8
        .value_kind:     by_value
      - .actual_access:  read_only
        .address_space:  global
        .offset:         40
        .size:           8
        .value_kind:     global_buffer
      - .actual_access:  read_only
        .address_space:  global
        .offset:         48
        .size:           8
        .value_kind:     global_buffer
      - .offset:         56
        .size:           4
        .value_kind:     by_value
      - .actual_access:  read_only
        .address_space:  global
        .offset:         64
        .size:           8
        .value_kind:     global_buffer
      - .actual_access:  read_only
        .address_space:  global
        .offset:         72
        .size:           8
        .value_kind:     global_buffer
      - .address_space:  global
        .offset:         80
        .size:           8
        .value_kind:     global_buffer
    .group_segment_fixed_size: 0
    .kernarg_segment_align: 8
    .kernarg_segment_size: 88
    .language:       OpenCL C
    .language_version:
      - 2
      - 0
    .max_flat_workgroup_size: 200
    .name:           fft_rtc_back_len160_factors_2_8_10_wgs_200_tpt_10_dim3_sp_ip_CI_sbcc_twdbase8_2step_dirReg_intrinsicReadWrite
    .private_segment_fixed_size: 0
    .sgpr_count:     28
    .sgpr_spill_count: 0
    .symbol:         fft_rtc_back_len160_factors_2_8_10_wgs_200_tpt_10_dim3_sp_ip_CI_sbcc_twdbase8_2step_dirReg_intrinsicReadWrite.kd
    .uniform_work_group_size: 1
    .uses_dynamic_stack: false
    .vgpr_count:     196
    .vgpr_spill_count: 0
    .wavefront_size: 32
    .workgroup_processor_mode: 1
amdhsa.target:   amdgcn-amd-amdhsa--gfx1201
amdhsa.version:
  - 1
  - 2
...

	.end_amdgpu_metadata
